;; amdgpu-corpus repo=ROCm/rocFFT kind=compiled arch=gfx906 opt=O3
	.text
	.amdgcn_target "amdgcn-amd-amdhsa--gfx906"
	.amdhsa_code_object_version 6
	.protected	fft_rtc_back_len1188_factors_6_11_2_3_3_wgs_198_tpt_66_halfLds_half_ip_CI_sbrr_dirReg ; -- Begin function fft_rtc_back_len1188_factors_6_11_2_3_3_wgs_198_tpt_66_halfLds_half_ip_CI_sbrr_dirReg
	.globl	fft_rtc_back_len1188_factors_6_11_2_3_3_wgs_198_tpt_66_halfLds_half_ip_CI_sbrr_dirReg
	.p2align	8
	.type	fft_rtc_back_len1188_factors_6_11_2_3_3_wgs_198_tpt_66_halfLds_half_ip_CI_sbrr_dirReg,@function
fft_rtc_back_len1188_factors_6_11_2_3_3_wgs_198_tpt_66_halfLds_half_ip_CI_sbrr_dirReg: ; @fft_rtc_back_len1188_factors_6_11_2_3_3_wgs_198_tpt_66_halfLds_half_ip_CI_sbrr_dirReg
; %bb.0:
	s_load_dwordx2 s[14:15], s[4:5], 0x18
	s_load_dwordx4 s[8:11], s[4:5], 0x0
	s_load_dwordx2 s[12:13], s[4:5], 0x50
	v_mul_u32_u24_e32 v1, 0x3e1, v0
	v_lshrrev_b32_e32 v1, 16, v1
	s_waitcnt lgkmcnt(0)
	s_load_dwordx2 s[2:3], s[14:15], 0x0
	v_mad_u64_u32 v[1:2], s[0:1], s6, 3, v[1:2]
	v_mov_b32_e32 v5, 0
	v_cmp_lt_u64_e64 s[0:1], s[10:11], 2
	v_mov_b32_e32 v2, v5
	v_mov_b32_e32 v3, 0
	;; [unrolled: 1-line block ×3, first 2 shown]
	s_and_b64 vcc, exec, s[0:1]
	v_mov_b32_e32 v4, 0
	v_mov_b32_e32 v9, v1
	s_cbranch_vccnz .LBB0_8
; %bb.1:
	s_load_dwordx2 s[0:1], s[4:5], 0x10
	s_add_u32 s6, s14, 8
	s_addc_u32 s7, s15, 0
	v_mov_b32_e32 v3, 0
	v_mov_b32_e32 v8, v2
	s_waitcnt lgkmcnt(0)
	s_add_u32 s18, s0, 8
	s_mov_b64 s[16:17], 1
	v_mov_b32_e32 v4, 0
	s_addc_u32 s19, s1, 0
	v_mov_b32_e32 v7, v1
.LBB0_2:                                ; =>This Inner Loop Header: Depth=1
	s_load_dwordx2 s[20:21], s[18:19], 0x0
                                        ; implicit-def: $vgpr9_vgpr10
	s_waitcnt lgkmcnt(0)
	v_or_b32_e32 v6, s21, v8
	v_cmp_ne_u64_e32 vcc, 0, v[5:6]
	s_and_saveexec_b64 s[0:1], vcc
	s_xor_b64 s[22:23], exec, s[0:1]
	s_cbranch_execz .LBB0_4
; %bb.3:                                ;   in Loop: Header=BB0_2 Depth=1
	v_cvt_f32_u32_e32 v2, s20
	v_cvt_f32_u32_e32 v6, s21
	s_sub_u32 s0, 0, s20
	s_subb_u32 s1, 0, s21
	v_mac_f32_e32 v2, 0x4f800000, v6
	v_rcp_f32_e32 v2, v2
	v_mul_f32_e32 v2, 0x5f7ffffc, v2
	v_mul_f32_e32 v6, 0x2f800000, v2
	v_trunc_f32_e32 v6, v6
	v_mac_f32_e32 v2, 0xcf800000, v6
	v_cvt_u32_f32_e32 v6, v6
	v_cvt_u32_f32_e32 v2, v2
	v_mul_lo_u32 v9, s0, v6
	v_mul_hi_u32 v10, s0, v2
	v_mul_lo_u32 v12, s1, v2
	v_mul_lo_u32 v11, s0, v2
	v_add_u32_e32 v9, v10, v9
	v_add_u32_e32 v9, v9, v12
	v_mul_hi_u32 v10, v2, v11
	v_mul_lo_u32 v12, v2, v9
	v_mul_hi_u32 v14, v2, v9
	v_mul_hi_u32 v13, v6, v11
	v_mul_lo_u32 v11, v6, v11
	v_mul_hi_u32 v15, v6, v9
	v_add_co_u32_e32 v10, vcc, v10, v12
	v_addc_co_u32_e32 v12, vcc, 0, v14, vcc
	v_mul_lo_u32 v9, v6, v9
	v_add_co_u32_e32 v10, vcc, v10, v11
	v_addc_co_u32_e32 v10, vcc, v12, v13, vcc
	v_addc_co_u32_e32 v11, vcc, 0, v15, vcc
	v_add_co_u32_e32 v9, vcc, v10, v9
	v_addc_co_u32_e32 v10, vcc, 0, v11, vcc
	v_add_co_u32_e32 v2, vcc, v2, v9
	v_addc_co_u32_e32 v6, vcc, v6, v10, vcc
	v_mul_lo_u32 v9, s0, v6
	v_mul_hi_u32 v10, s0, v2
	v_mul_lo_u32 v11, s1, v2
	v_mul_lo_u32 v12, s0, v2
	v_add_u32_e32 v9, v10, v9
	v_add_u32_e32 v9, v9, v11
	v_mul_lo_u32 v13, v2, v9
	v_mul_hi_u32 v14, v2, v12
	v_mul_hi_u32 v15, v2, v9
	;; [unrolled: 1-line block ×3, first 2 shown]
	v_mul_lo_u32 v12, v6, v12
	v_mul_hi_u32 v10, v6, v9
	v_add_co_u32_e32 v13, vcc, v14, v13
	v_addc_co_u32_e32 v14, vcc, 0, v15, vcc
	v_mul_lo_u32 v9, v6, v9
	v_add_co_u32_e32 v12, vcc, v13, v12
	v_addc_co_u32_e32 v11, vcc, v14, v11, vcc
	v_addc_co_u32_e32 v10, vcc, 0, v10, vcc
	v_add_co_u32_e32 v9, vcc, v11, v9
	v_addc_co_u32_e32 v10, vcc, 0, v10, vcc
	v_add_co_u32_e32 v2, vcc, v2, v9
	v_addc_co_u32_e32 v6, vcc, v6, v10, vcc
	v_mad_u64_u32 v[9:10], s[0:1], v7, v6, 0
	v_mul_hi_u32 v11, v7, v2
	v_add_co_u32_e32 v13, vcc, v11, v9
	v_addc_co_u32_e32 v14, vcc, 0, v10, vcc
	v_mad_u64_u32 v[9:10], s[0:1], v8, v2, 0
	v_mad_u64_u32 v[11:12], s[0:1], v8, v6, 0
	v_add_co_u32_e32 v2, vcc, v13, v9
	v_addc_co_u32_e32 v2, vcc, v14, v10, vcc
	v_addc_co_u32_e32 v6, vcc, 0, v12, vcc
	v_add_co_u32_e32 v2, vcc, v2, v11
	v_addc_co_u32_e32 v6, vcc, 0, v6, vcc
	v_mul_lo_u32 v11, s21, v2
	v_mul_lo_u32 v12, s20, v6
	v_mad_u64_u32 v[9:10], s[0:1], s20, v2, 0
	v_add3_u32 v10, v10, v12, v11
	v_sub_u32_e32 v11, v8, v10
	v_mov_b32_e32 v12, s21
	v_sub_co_u32_e32 v9, vcc, v7, v9
	v_subb_co_u32_e64 v11, s[0:1], v11, v12, vcc
	v_subrev_co_u32_e64 v12, s[0:1], s20, v9
	v_subbrev_co_u32_e64 v11, s[0:1], 0, v11, s[0:1]
	v_cmp_le_u32_e64 s[0:1], s21, v11
	v_cndmask_b32_e64 v13, 0, -1, s[0:1]
	v_cmp_le_u32_e64 s[0:1], s20, v12
	v_cndmask_b32_e64 v12, 0, -1, s[0:1]
	v_cmp_eq_u32_e64 s[0:1], s21, v11
	v_cndmask_b32_e64 v11, v13, v12, s[0:1]
	v_add_co_u32_e64 v12, s[0:1], 2, v2
	v_addc_co_u32_e64 v13, s[0:1], 0, v6, s[0:1]
	v_add_co_u32_e64 v14, s[0:1], 1, v2
	v_addc_co_u32_e64 v15, s[0:1], 0, v6, s[0:1]
	v_subb_co_u32_e32 v10, vcc, v8, v10, vcc
	v_cmp_ne_u32_e64 s[0:1], 0, v11
	v_cmp_le_u32_e32 vcc, s21, v10
	v_cndmask_b32_e64 v11, v15, v13, s[0:1]
	v_cndmask_b32_e64 v13, 0, -1, vcc
	v_cmp_le_u32_e32 vcc, s20, v9
	v_cndmask_b32_e64 v9, 0, -1, vcc
	v_cmp_eq_u32_e32 vcc, s21, v10
	v_cndmask_b32_e32 v9, v13, v9, vcc
	v_cmp_ne_u32_e32 vcc, 0, v9
	v_cndmask_b32_e32 v10, v6, v11, vcc
	v_cndmask_b32_e64 v6, v14, v12, s[0:1]
	v_cndmask_b32_e32 v9, v2, v6, vcc
.LBB0_4:                                ;   in Loop: Header=BB0_2 Depth=1
	s_andn2_saveexec_b64 s[0:1], s[22:23]
	s_cbranch_execz .LBB0_6
; %bb.5:                                ;   in Loop: Header=BB0_2 Depth=1
	v_cvt_f32_u32_e32 v2, s20
	s_sub_i32 s22, 0, s20
	v_rcp_iflag_f32_e32 v2, v2
	v_mul_f32_e32 v2, 0x4f7ffffe, v2
	v_cvt_u32_f32_e32 v2, v2
	v_mul_lo_u32 v6, s22, v2
	v_mul_hi_u32 v6, v2, v6
	v_add_u32_e32 v2, v2, v6
	v_mul_hi_u32 v2, v7, v2
	v_mul_lo_u32 v6, v2, s20
	v_add_u32_e32 v9, 1, v2
	v_sub_u32_e32 v6, v7, v6
	v_subrev_u32_e32 v10, s20, v6
	v_cmp_le_u32_e32 vcc, s20, v6
	v_cndmask_b32_e32 v6, v6, v10, vcc
	v_cndmask_b32_e32 v2, v2, v9, vcc
	v_add_u32_e32 v9, 1, v2
	v_cmp_le_u32_e32 vcc, s20, v6
	v_cndmask_b32_e32 v9, v2, v9, vcc
	v_mov_b32_e32 v10, v5
.LBB0_6:                                ;   in Loop: Header=BB0_2 Depth=1
	s_or_b64 exec, exec, s[0:1]
	v_mul_lo_u32 v2, v10, s20
	v_mul_lo_u32 v6, v9, s21
	v_mad_u64_u32 v[11:12], s[0:1], v9, s20, 0
	s_load_dwordx2 s[0:1], s[6:7], 0x0
	s_add_u32 s16, s16, 1
	v_add3_u32 v2, v12, v6, v2
	v_sub_co_u32_e32 v6, vcc, v7, v11
	v_subb_co_u32_e32 v2, vcc, v8, v2, vcc
	s_waitcnt lgkmcnt(0)
	v_mul_lo_u32 v2, s0, v2
	v_mul_lo_u32 v7, s1, v6
	v_mad_u64_u32 v[3:4], s[0:1], s0, v6, v[3:4]
	s_addc_u32 s17, s17, 0
	s_add_u32 s6, s6, 8
	v_add3_u32 v4, v7, v4, v2
	v_mov_b32_e32 v6, s10
	v_mov_b32_e32 v7, s11
	s_addc_u32 s7, s7, 0
	v_cmp_ge_u64_e32 vcc, s[16:17], v[6:7]
	s_add_u32 s18, s18, 8
	s_addc_u32 s19, s19, 0
	s_cbranch_vccnz .LBB0_8
; %bb.7:                                ;   in Loop: Header=BB0_2 Depth=1
	v_mov_b32_e32 v7, v9
	v_mov_b32_e32 v8, v10
	s_branch .LBB0_2
.LBB0_8:
	s_lshl_b64 s[0:1], s[10:11], 3
	s_add_u32 s0, s14, s0
	s_addc_u32 s1, s15, s1
	s_load_dwordx2 s[6:7], s[0:1], 0x0
	s_load_dwordx2 s[10:11], s[4:5], 0x20
                                        ; implicit-def: $vgpr7
	s_waitcnt lgkmcnt(0)
	v_mad_u64_u32 v[2:3], s[0:1], s6, v9, v[3:4]
	s_mov_b32 s0, 0x3e0f83f
	v_mul_hi_u32 v4, v0, s0
	v_mul_lo_u32 v5, s6, v10
	v_mul_lo_u32 v6, s7, v9
	v_cmp_gt_u64_e32 vcc, s[10:11], v[9:10]
	v_cmp_le_u64_e64 s[0:1], s[10:11], v[9:10]
	v_mul_u32_u24_e32 v4, 0x42, v4
	v_add3_u32 v3, v6, v3, v5
	v_sub_u32_e32 v0, v0, v4
                                        ; implicit-def: $vgpr5
	s_and_saveexec_b64 s[4:5], s[0:1]
	s_xor_b64 s[0:1], exec, s[4:5]
; %bb.9:
	v_add_u32_e32 v7, 0x42, v0
	v_add_u32_e32 v5, 0x84, v0
; %bb.10:
	s_or_saveexec_b64 s[4:5], s[0:1]
	v_lshlrev_b64 v[2:3], 2, v[2:3]
                                        ; implicit-def: $vgpr23
                                        ; implicit-def: $vgpr10
                                        ; implicit-def: $vgpr21
                                        ; implicit-def: $vgpr8
                                        ; implicit-def: $vgpr31
                                        ; implicit-def: $vgpr12
                                        ; implicit-def: $vgpr28
                                        ; implicit-def: $vgpr9
                                        ; implicit-def: $vgpr37
                                        ; implicit-def: $vgpr13
                                        ; implicit-def: $vgpr34
                                        ; implicit-def: $vgpr11
                                        ; implicit-def: $vgpr22
                                        ; implicit-def: $vgpr4
                                        ; implicit-def: $vgpr19
                                        ; implicit-def: $vgpr6
                                        ; implicit-def: $vgpr30
                                        ; implicit-def: $vgpr15
                                        ; implicit-def: $vgpr26
                                        ; implicit-def: $vgpr39
                                        ; implicit-def: $vgpr36
                                        ; implicit-def: $vgpr16
                                        ; implicit-def: $vgpr32
                                        ; implicit-def: $vgpr40
                                        ; implicit-def: $vgpr20
                                        ; implicit-def: $vgpr25
                                        ; implicit-def: $vgpr18
                                        ; implicit-def: $vgpr27
                                        ; implicit-def: $vgpr29
                                        ; implicit-def: $vgpr14
                                        ; implicit-def: $vgpr24
                                        ; implicit-def: $vgpr38
                                        ; implicit-def: $vgpr35
                                        ; implicit-def: $vgpr17
                                        ; implicit-def: $vgpr33
                                        ; implicit-def: $vgpr41
	s_xor_b64 exec, exec, s[4:5]
	s_cbranch_execz .LBB0_12
; %bb.11:
	v_mad_u64_u32 v[4:5], s[0:1], s2, v0, 0
	v_add_u32_e32 v9, 0xc6, v0
	v_mov_b32_e32 v8, s13
	v_mad_u64_u32 v[5:6], s[0:1], s3, v0, v[5:6]
	v_mad_u64_u32 v[6:7], s[0:1], s2, v9, 0
	v_add_co_u32_e64 v43, s[0:1], s12, v2
	v_addc_co_u32_e64 v44, s[0:1], v8, v3, s[0:1]
	v_mad_u64_u32 v[7:8], s[0:1], s3, v9, v[7:8]
	v_add_u32_e32 v10, 0x18c, v0
	v_mad_u64_u32 v[8:9], s[0:1], s2, v10, 0
	v_lshlrev_b64 v[4:5], 2, v[4:5]
	v_add_u32_e32 v13, 0x108, v0
	v_add_co_u32_e64 v14, s[0:1], v43, v4
	v_addc_co_u32_e64 v15, s[0:1], v44, v5, s[0:1]
	v_lshlrev_b64 v[4:5], 2, v[6:7]
	v_mov_b32_e32 v6, v9
	v_mad_u64_u32 v[6:7], s[0:1], s3, v10, v[6:7]
	v_add_u32_e32 v7, 0x252, v0
	v_mad_u64_u32 v[10:11], s[0:1], s2, v7, 0
	v_add_co_u32_e64 v16, s[0:1], v43, v4
	v_mov_b32_e32 v9, v6
	v_mov_b32_e32 v6, v11
	v_addc_co_u32_e64 v17, s[0:1], v44, v5, s[0:1]
	v_lshlrev_b64 v[4:5], 2, v[8:9]
	v_mad_u64_u32 v[6:7], s[0:1], s3, v7, v[6:7]
	v_add_u32_e32 v9, 0x318, v0
	v_mad_u64_u32 v[7:8], s[0:1], s2, v9, 0
	v_add_co_u32_e64 v18, s[0:1], v43, v4
	v_mov_b32_e32 v11, v6
	v_mov_b32_e32 v6, v8
	v_addc_co_u32_e64 v19, s[0:1], v44, v5, s[0:1]
	v_lshlrev_b64 v[4:5], 2, v[10:11]
	v_mad_u64_u32 v[8:9], s[0:1], s3, v9, v[6:7]
	v_add_u32_e32 v11, 0x3de, v0
	v_mad_u64_u32 v[9:10], s[0:1], s2, v11, 0
	v_add_co_u32_e64 v20, s[0:1], v43, v4
	v_mov_b32_e32 v6, v10
	v_addc_co_u32_e64 v21, s[0:1], v44, v5, s[0:1]
	v_lshlrev_b64 v[4:5], 2, v[7:8]
	v_mad_u64_u32 v[6:7], s[0:1], s3, v11, v[6:7]
	v_add_u32_e32 v7, 0x42, v0
	v_mad_u64_u32 v[11:12], s[0:1], s2, v7, 0
	v_add_co_u32_e64 v22, s[0:1], v43, v4
	v_mov_b32_e32 v10, v6
	v_mov_b32_e32 v6, v12
	v_addc_co_u32_e64 v23, s[0:1], v44, v5, s[0:1]
	v_lshlrev_b64 v[4:5], 2, v[9:10]
	v_mad_u64_u32 v[8:9], s[0:1], s3, v7, v[6:7]
	v_mad_u64_u32 v[9:10], s[0:1], s2, v13, 0
	v_add_co_u32_e64 v24, s[0:1], v43, v4
	v_mov_b32_e32 v12, v8
	v_addc_co_u32_e64 v25, s[0:1], v44, v5, s[0:1]
	v_lshlrev_b64 v[4:5], 2, v[11:12]
	v_mov_b32_e32 v6, v10
	v_mad_u64_u32 v[10:11], s[0:1], s3, v13, v[6:7]
	v_add_co_u32_e64 v26, s[0:1], v43, v4
	v_add_u32_e32 v6, 0x1ce, v0
	v_addc_co_u32_e64 v27, s[0:1], v44, v5, s[0:1]
	v_mad_u64_u32 v[28:29], s[0:1], s2, v6, 0
	v_lshlrev_b64 v[4:5], 2, v[9:10]
	v_add_u32_e32 v34, 0x294, v0
	v_add_co_u32_e64 v30, s[0:1], v43, v4
	v_mov_b32_e32 v4, v29
	v_addc_co_u32_e64 v31, s[0:1], v44, v5, s[0:1]
	v_mad_u64_u32 v[5:6], s[0:1], s3, v6, v[4:5]
	global_load_dword v10, v[14:15], off
	global_load_dword v8, v[16:17], off
	;; [unrolled: 1-line block ×8, first 2 shown]
	v_mad_u64_u32 v[32:33], s[0:1], s2, v34, 0
	v_mov_b32_e32 v29, v5
	v_add_u32_e32 v21, 0x35a, v0
	v_mov_b32_e32 v5, v33
	v_lshlrev_b64 v[14:15], 2, v[28:29]
	v_add_u32_e32 v24, 0x14a, v0
	v_add_u32_e32 v45, 0x462, v0
	s_waitcnt vmcnt(0)
	v_mad_u64_u32 v[16:17], s[0:1], s3, v34, v[5:6]
	v_mad_u64_u32 v[17:18], s[0:1], s2, v21, 0
	v_add_co_u32_e64 v19, s[0:1], v43, v14
	v_mov_b32_e32 v5, v18
	v_addc_co_u32_e64 v20, s[0:1], v44, v15, s[0:1]
	v_mov_b32_e32 v33, v16
	v_mad_u64_u32 v[21:22], s[0:1], s3, v21, v[5:6]
	v_add_u32_e32 v16, 0x420, v0
	v_mad_u64_u32 v[22:23], s[0:1], s2, v16, 0
	v_lshlrev_b64 v[14:15], 2, v[32:33]
	v_mov_b32_e32 v18, v21
	v_add_co_u32_e64 v28, s[0:1], v43, v14
	v_mov_b32_e32 v5, v23
	v_addc_co_u32_e64 v29, s[0:1], v44, v15, s[0:1]
	v_lshlrev_b64 v[14:15], 2, v[17:18]
	v_mad_u64_u32 v[16:17], s[0:1], s3, v16, v[5:6]
	v_add_u32_e32 v5, 0x84, v0
	v_mad_u64_u32 v[17:18], s[0:1], s2, v5, 0
	v_add_co_u32_e64 v30, s[0:1], v43, v14
	v_mov_b32_e32 v23, v16
	v_mov_b32_e32 v16, v18
	v_addc_co_u32_e64 v31, s[0:1], v44, v15, s[0:1]
	v_lshlrev_b64 v[14:15], 2, v[22:23]
	v_mad_u64_u32 v[21:22], s[0:1], s3, v5, v[16:17]
	v_mad_u64_u32 v[22:23], s[0:1], s2, v24, 0
	v_add_co_u32_e64 v32, s[0:1], v43, v14
	v_mov_b32_e32 v18, v21
	v_mov_b32_e32 v16, v23
	v_addc_co_u32_e64 v33, s[0:1], v44, v15, s[0:1]
	v_lshlrev_b64 v[14:15], 2, v[17:18]
	v_mad_u64_u32 v[16:17], s[0:1], s3, v24, v[16:17]
	v_add_u32_e32 v21, 0x210, v0
	v_mad_u64_u32 v[17:18], s[0:1], s2, v21, 0
	v_add_co_u32_e64 v34, s[0:1], v43, v14
	v_mov_b32_e32 v23, v16
	v_mov_b32_e32 v16, v18
	v_addc_co_u32_e64 v35, s[0:1], v44, v15, s[0:1]
	v_lshlrev_b64 v[14:15], 2, v[22:23]
	v_mad_u64_u32 v[21:22], s[0:1], s3, v21, v[16:17]
	v_add_u32_e32 v24, 0x2d6, v0
	v_mad_u64_u32 v[22:23], s[0:1], s2, v24, 0
	v_add_co_u32_e64 v36, s[0:1], v43, v14
	v_mov_b32_e32 v18, v21
	v_mov_b32_e32 v16, v23
	v_addc_co_u32_e64 v37, s[0:1], v44, v15, s[0:1]
	v_lshlrev_b64 v[14:15], 2, v[17:18]
	v_mad_u64_u32 v[16:17], s[0:1], s3, v24, v[16:17]
	v_add_co_u32_e64 v17, s[0:1], v43, v14
	v_mov_b32_e32 v23, v16
	v_add_u32_e32 v16, 0x39c, v0
	v_addc_co_u32_e64 v18, s[0:1], v44, v15, s[0:1]
	v_lshlrev_b64 v[14:15], 2, v[22:23]
	v_mad_u64_u32 v[21:22], s[0:1], s2, v16, 0
	v_add_co_u32_e64 v23, s[0:1], v43, v14
	v_addc_co_u32_e64 v24, s[0:1], v44, v15, s[0:1]
	v_mad_u64_u32 v[41:42], s[0:1], s2, v45, 0
	v_mov_b32_e32 v14, v22
	v_mad_u64_u32 v[26:27], s[0:1], s3, v16, v[14:15]
	global_load_dword v15, v[19:20], off
	global_load_dword v39, v[28:29], off
	;; [unrolled: 1-line block ×8, first 2 shown]
	v_mov_b32_e32 v19, v42
	v_mad_u64_u32 v[19:20], s[0:1], s3, v45, v[19:20]
	v_mov_b32_e32 v22, v26
	v_lshlrev_b64 v[17:18], 2, v[21:22]
	v_mov_b32_e32 v42, v19
	v_add_co_u32_e64 v20, s[0:1], v43, v17
	v_addc_co_u32_e64 v21, s[0:1], v44, v18, s[0:1]
	v_lshlrev_b64 v[17:18], 2, v[41:42]
	v_lshrrev_b32_e32 v31, 16, v12
	v_add_co_u32_e64 v22, s[0:1], v43, v17
	v_addc_co_u32_e64 v23, s[0:1], v44, v18, s[0:1]
	global_load_dword v17, v[20:21], off
	global_load_dword v41, v[22:23], off
	v_lshrrev_b32_e32 v23, 16, v10
	v_lshrrev_b32_e32 v21, 16, v8
	;; [unrolled: 1-line block ×7, first 2 shown]
	s_waitcnt vmcnt(9)
	v_lshrrev_b32_e32 v30, 16, v15
	s_waitcnt vmcnt(8)
	v_lshrrev_b32_e32 v26, 16, v39
	;; [unrolled: 2-line block ×10, first 2 shown]
.LBB0_12:
	s_or_b64 exec, exec, s[4:5]
	s_mov_b32 s0, 0xaaaaaaab
	v_mul_hi_u32 v42, v1, s0
	v_add_f16_e32 v44, v12, v13
	v_add_f16_e32 v43, v10, v12
	s_mov_b32 s7, 0xbaee
	v_lshrrev_b32_e32 v42, 1, v42
	v_lshl_add_u32 v42, v42, 1, v42
	v_sub_u32_e32 v47, v1, v42
	v_fma_f16 v1, v44, -0.5, v10
	v_sub_f16_e32 v10, v31, v37
	s_movk_i32 s6, 0x3aee
	v_fma_f16 v44, v10, s7, v1
	v_fma_f16 v10, v10, s6, v1
	v_add_f16_e32 v1, v8, v9
	v_add_f16_e32 v48, v1, v11
	v_add_f16_e32 v1, v9, v11
	v_fma_f16 v1, v1, -0.5, v8
	v_sub_f16_e32 v8, v28, v34
	v_fma_f16 v42, v8, s7, v1
	v_fma_f16 v1, v8, s6, v1
	v_add_f16_e32 v8, v28, v34
	v_fma_f16 v8, v8, -0.5, v21
	v_sub_f16_e32 v9, v9, v11
	v_fma_f16 v46, v9, s6, v8
	v_add_f16_e32 v45, v43, v13
	v_fma_f16 v43, v9, s7, v8
	v_mul_f16_e32 v9, 0xbaee, v46
	v_fma_f16 v9, v42, 0.5, v9
	v_add_f16_e32 v8, v45, v48
	v_sub_f16_e32 v11, v45, v48
	v_add_f16_e32 v45, v44, v9
	v_sub_f16_e32 v44, v44, v9
	v_mul_f16_e32 v9, 0xbaee, v43
	v_fma_f16 v9, v1, -0.5, v9
	v_add_f16_e32 v48, v10, v9
	v_sub_f16_e32 v10, v10, v9
	v_mul_u32_u24_e32 v9, 0x4a4, v47
	v_lshlrev_b32_e32 v9, 1, v9
	v_mul_u32_u24_e32 v47, 6, v0
	v_pack_b32_f16 v8, v8, v45
	v_add_u32_e32 v45, 0, v9
	v_pack_b32_f16 v11, v48, v11
	v_lshl_add_u32 v54, v47, 1, v45
	ds_write2_b32 v54, v8, v11 offset1:1
	v_add_f16_e32 v8, v15, v16
	v_fma_f16 v8, v8, -0.5, v4
	v_sub_f16_e32 v11, v30, v36
	v_fma_f16 v47, v11, s7, v8
	v_fma_f16 v8, v11, s6, v8
	v_add_f16_e32 v11, v39, v40
	v_fma_f16 v11, v11, -0.5, v6
	v_sub_f16_e32 v48, v26, v32
	v_fma_f16 v57, v48, s7, v11
	v_fma_f16 v56, v48, s6, v11
	v_add_f16_e32 v6, v6, v39
	v_sub_f16_e32 v11, v39, v40
	v_add_f16_e32 v39, v26, v32
	v_add_f16_e32 v4, v4, v15
	;; [unrolled: 1-line block ×3, first 2 shown]
	v_fma_f16 v39, v39, -0.5, v19
	v_add_f16_e32 v4, v4, v16
	v_fma_f16 v65, v11, s6, v39
	v_fma_f16 v63, v11, s7, v39
	v_add_f16_e32 v11, v4, v6
	v_sub_f16_e32 v4, v4, v6
	v_pack_b32_f16 v6, v44, v10
	ds_write_b32 v54, v6 offset:8
	v_mul_f16_e32 v6, 0xbaee, v63
	v_fma_f16 v6, v56, -0.5, v6
	v_add_f16_e32 v10, v8, v6
	v_pack_b32_f16 v4, v10, v4
	v_mul_f16_e32 v10, 0xbaee, v65
	v_fma_f16 v10, v57, 0.5, v10
	v_add_f16_e32 v39, v47, v10
	v_pack_b32_f16 v11, v11, v39
	v_mul_i32_i24_e32 v39, 6, v7
	v_lshl_add_u32 v55, v39, 1, v45
	v_sub_f16_e32 v8, v8, v6
	v_add_f16_e32 v6, v14, v17
	ds_write2_b32 v55, v11, v4 offset1:1
	v_sub_f16_e32 v4, v47, v10
	v_fma_f16 v6, v6, -0.5, v25
	v_sub_f16_e32 v10, v29, v35
	v_fma_f16 v11, v10, s7, v6
	v_fma_f16 v6, v10, s6, v6
	v_add_f16_e32 v10, v38, v41
	v_fma_f16 v10, v10, -0.5, v27
	v_sub_f16_e32 v39, v24, v33
	v_fma_f16 v68, v39, s7, v10
	v_fma_f16 v67, v39, s6, v10
	v_add_f16_e32 v10, v27, v38
	v_sub_f16_e32 v27, v38, v41
	v_add_f16_e32 v38, v24, v33
	v_fma_f16 v38, v38, -0.5, v18
	v_add_f16_e32 v25, v25, v14
	v_add_f16_e32 v10, v10, v41
	v_fma_f16 v70, v27, s6, v38
	v_fma_f16 v69, v27, s7, v38
	v_add_f16_e32 v25, v25, v17
	v_pack_b32_f16 v4, v4, v8
	v_add_f16_e32 v58, v25, v10
	v_sub_f16_e32 v51, v25, v10
	ds_write_b32 v55, v4 offset:8
	v_mul_f16_e32 v4, 0xbaee, v70
	v_mul_f16_e32 v10, 0xbaee, v69
	v_fma_f16 v4, v68, 0.5, v4
	v_fma_f16 v10, v67, -0.5, v10
	v_mul_i32_i24_e32 v25, 6, v5
	v_add_f16_e32 v61, v11, v4
	v_add_f16_e32 v59, v6, v10
	v_lshl_add_u32 v66, v25, 1, v45
	v_pack_b32_f16 v25, v59, v51
	v_pack_b32_f16 v27, v58, v61
	ds_write2_b32 v66, v27, v25 offset1:1
	v_sub_f16_e32 v27, v11, v4
	v_sub_f16_e32 v25, v6, v10
	v_pack_b32_f16 v4, v27, v25
	ds_write_b32 v66, v4 offset:8
	v_lshlrev_b32_e32 v4, 1, v0
	v_add_u32_e32 v10, v45, v4
	s_waitcnt lgkmcnt(0)
	s_barrier
	v_add3_u32 v11, 0, v4, v9
	ds_read_u16 v48, v10
	ds_read_u16 v39, v11 offset:216
	ds_read_u16 v41, v11 offset:432
	;; [unrolled: 1-line block ×10, first 2 shown]
	v_cmp_gt_u32_e64 s[0:1], 42, v0
	v_lshlrev_b32_e32 v6, 1, v7
                                        ; implicit-def: $vgpr53
                                        ; implicit-def: $vgpr52
                                        ; implicit-def: $vgpr60
                                        ; implicit-def: $vgpr62
	s_and_saveexec_b64 s[4:5], s[0:1]
	s_cbranch_execz .LBB0_14
; %bb.13:
	v_add3_u32 v8, 0, v6, v9
	ds_read_u16 v58, v11 offset:348
	ds_read_u16 v61, v11 offset:564
	;; [unrolled: 1-line block ×9, first 2 shown]
	ds_read_u16 v8, v8
	ds_read_u16 v53, v11 offset:2292
.LBB0_14:
	s_or_b64 exec, exec, s[4:5]
	v_add_f16_e32 v71, v23, v31
	v_add_f16_e32 v31, v31, v37
	v_fma_f16 v23, v31, -0.5, v23
	v_sub_f16_e32 v12, v12, v13
	v_add_f16_e32 v21, v21, v28
	v_mul_f16_e32 v28, 0x3aee, v42
	v_fma_f16 v13, v12, s6, v23
	v_fma_f16 v28, v46, 0.5, v28
	v_add_f16_e32 v21, v21, v34
	v_add_f16_e32 v31, v13, v28
	v_mul_f16_e32 v34, -0.5, v43
	v_sub_f16_e32 v28, v13, v28
	v_add_f16_e32 v13, v30, v36
	v_fma_f16 v12, v12, s7, v23
	v_fma_f16 v1, v1, s6, v34
	v_fma_f16 v13, v13, -0.5, v22
	v_sub_f16_e32 v15, v15, v16
	v_add_f16_e32 v34, v12, v1
	v_sub_f16_e32 v12, v12, v1
	v_add_f16_e32 v1, v22, v30
	v_fma_f16 v16, v15, s6, v13
	v_fma_f16 v13, v15, s7, v13
	v_add_f16_e32 v15, v19, v26
	v_mul_f16_e32 v30, -0.5, v63
	v_add_f16_e32 v1, v1, v36
	v_add_f16_e32 v15, v15, v32
	v_fma_f16 v30, v56, s6, v30
	v_add_f16_e32 v22, v1, v15
	v_add_f16_e32 v32, v13, v30
	v_sub_f16_e32 v15, v1, v15
	v_sub_f16_e32 v1, v13, v30
	v_add_f16_e32 v13, v20, v29
	v_mul_f16_e32 v19, 0x3aee, v57
	v_add_f16_e32 v30, v13, v35
	v_add_f16_e32 v13, v29, v35
	;; [unrolled: 1-line block ×3, first 2 shown]
	v_fma_f16 v19, v65, 0.5, v19
	v_fma_f16 v13, v13, -0.5, v20
	v_sub_f16_e32 v14, v14, v17
	v_add_f16_e32 v23, v71, v21
	v_sub_f16_e32 v21, v71, v21
	v_add_f16_e32 v26, v16, v19
	v_sub_f16_e32 v16, v16, v19
	v_fma_f16 v20, v14, s6, v13
	v_fma_f16 v29, v14, s7, v13
	v_add_f16_e32 v13, v18, v24
	v_mul_f16_e32 v17, 0x3aee, v68
	v_mul_f16_e32 v19, -0.5, v69
	v_pack_b32_f16 v12, v28, v12
	v_add_f16_e32 v14, v13, v33
	v_fma_f16 v18, v70, 0.5, v17
	v_fma_f16 v24, v67, s6, v19
	s_waitcnt lgkmcnt(0)
	s_barrier
	v_pack_b32_f16 v21, v34, v21
	v_pack_b32_f16 v23, v23, v31
	ds_write_b32 v54, v12 offset:8
	v_pack_b32_f16 v12, v32, v15
	v_pack_b32_f16 v15, v22, v26
	v_add_f16_e32 v13, v30, v14
	v_add_f16_e32 v17, v20, v18
	;; [unrolled: 1-line block ×3, first 2 shown]
	v_sub_f16_e32 v14, v30, v14
	ds_write2_b32 v54, v23, v21 offset1:1
	ds_write2_b32 v55, v15, v12 offset1:1
	v_pack_b32_f16 v12, v16, v1
	v_sub_f16_e32 v18, v20, v18
	v_sub_f16_e32 v20, v29, v24
	ds_write_b32 v55, v12 offset:8
	v_pack_b32_f16 v12, v19, v14
	v_pack_b32_f16 v15, v13, v17
	ds_write2_b32 v66, v15, v12 offset1:1
	v_pack_b32_f16 v12, v18, v20
	ds_write_b32 v66, v12 offset:8
	s_waitcnt lgkmcnt(0)
	s_barrier
	ds_read_u16 v15, v10
	ds_read_u16 v31, v11 offset:216
	ds_read_u16 v30, v11 offset:432
	ds_read_u16 v16, v11 offset:648
	ds_read_u16 v28, v11 offset:864
	ds_read_u16 v26, v11 offset:1080
	ds_read_u16 v24, v11 offset:1296
	ds_read_u16 v23, v11 offset:1512
	ds_read_u16 v22, v11 offset:1728
	ds_read_u16 v21, v11 offset:1944
	ds_read_u16 v12, v11 offset:2160
                                        ; implicit-def: $vgpr57
                                        ; implicit-def: $vgpr54
                                        ; implicit-def: $vgpr29
                                        ; implicit-def: $vgpr63
	s_and_saveexec_b64 s[4:5], s[0:1]
	s_cbranch_execz .LBB0_16
; %bb.15:
	v_add3_u32 v1, 0, v6, v9
	ds_read_u16 v13, v11 offset:348
	ds_read_u16 v17, v11 offset:564
	;; [unrolled: 1-line block ×9, first 2 shown]
	ds_read_u16 v1, v1
	ds_read_u16 v57, v11 offset:2292
.LBB0_16:
	s_or_b64 exec, exec, s[4:5]
	s_movk_i32 s4, 0xab
	v_mul_lo_u16_sdwa v32, v0, s4 dst_sel:DWORD dst_unused:UNUSED_PAD src0_sel:BYTE_0 src1_sel:DWORD
	v_lshrrev_b16_e32 v55, 10, v32
	v_mul_lo_u16_e32 v32, 6, v55
	v_sub_u16_e32 v56, v0, v32
	v_mov_b32_e32 v68, 10
	v_mul_u32_u24_sdwa v32, v56, v68 dst_sel:DWORD dst_unused:UNUSED_PAD src0_sel:BYTE_0 src1_sel:DWORD
	v_lshlrev_b32_e32 v46, 2, v32
	global_load_dwordx4 v[32:35], v46, s[8:9]
	s_movk_i32 s19, 0x3abb
	s_movk_i32 s20, 0x36a6
	s_mov_b32 s21, 0xb08e
	s_mov_b32 s22, 0xb93d
	s_mov_b32 s23, 0xbbad
	s_movk_i32 s24, 0x84
	s_mov_b32 s10, 0xb853
	s_mov_b32 s6, 0xbb47
	;; [unrolled: 1-line block ×5, first 2 shown]
	s_movk_i32 s16, 0x3482
	s_movk_i32 s15, 0x3beb
	;; [unrolled: 1-line block ×4, first 2 shown]
	s_waitcnt vmcnt(0) lgkmcnt(9)
	v_mul_f16_sdwa v36, v31, v32 dst_sel:DWORD dst_unused:UNUSED_PAD src0_sel:DWORD src1_sel:WORD_1
	v_fma_f16 v42, v39, v32, v36
	v_mul_f16_sdwa v36, v39, v32 dst_sel:DWORD dst_unused:UNUSED_PAD src0_sel:DWORD src1_sel:WORD_1
	v_fma_f16 v43, v31, v32, -v36
	s_waitcnt lgkmcnt(8)
	v_mul_f16_sdwa v31, v30, v33 dst_sel:DWORD dst_unused:UNUSED_PAD src0_sel:DWORD src1_sel:WORD_1
	v_fma_f16 v39, v41, v33, v31
	v_mul_f16_sdwa v31, v41, v33 dst_sel:DWORD dst_unused:UNUSED_PAD src0_sel:DWORD src1_sel:WORD_1
	v_fma_f16 v41, v30, v33, -v31
	s_waitcnt lgkmcnt(7)
	v_mul_f16_sdwa v30, v16, v34 dst_sel:DWORD dst_unused:UNUSED_PAD src0_sel:DWORD src1_sel:WORD_1
	v_fma_f16 v36, v64, v34, v30
	v_mul_f16_sdwa v30, v64, v34 dst_sel:DWORD dst_unused:UNUSED_PAD src0_sel:DWORD src1_sel:WORD_1
	global_load_dwordx4 v[64:67], v46, s[8:9] offset:16
	v_fma_f16 v37, v16, v34, -v30
	v_mul_f16_sdwa v30, v49, v35 dst_sel:DWORD dst_unused:UNUSED_PAD src0_sel:DWORD src1_sel:WORD_1
	s_waitcnt lgkmcnt(6)
	v_mul_f16_sdwa v16, v28, v35 dst_sel:DWORD dst_unused:UNUSED_PAD src0_sel:DWORD src1_sel:WORD_1
	v_fma_f16 v31, v28, v35, -v30
	v_fma_f16 v16, v49, v35, v16
	s_waitcnt vmcnt(0) lgkmcnt(5)
	v_mul_f16_sdwa v28, v26, v64 dst_sel:DWORD dst_unused:UNUSED_PAD src0_sel:DWORD src1_sel:WORD_1
	v_fma_f16 v32, v44, v64, v28
	v_mul_f16_sdwa v28, v44, v64 dst_sel:DWORD dst_unused:UNUSED_PAD src0_sel:DWORD src1_sel:WORD_1
	v_fma_f16 v33, v26, v64, -v28
	s_waitcnt lgkmcnt(4)
	v_mul_f16_sdwa v26, v24, v65 dst_sel:DWORD dst_unused:UNUSED_PAD src0_sel:DWORD src1_sel:WORD_1
	v_fma_f16 v34, v38, v65, v26
	v_mul_f16_sdwa v26, v38, v65 dst_sel:DWORD dst_unused:UNUSED_PAD src0_sel:DWORD src1_sel:WORD_1
	v_fma_f16 v35, v24, v65, -v26
	s_waitcnt lgkmcnt(3)
	;; [unrolled: 5-line block ×3, first 2 shown]
	v_mul_f16_sdwa v23, v22, v67 dst_sel:DWORD dst_unused:UNUSED_PAD src0_sel:DWORD src1_sel:WORD_1
	v_fma_f16 v44, v45, v67, v23
	v_mul_f16_sdwa v23, v45, v67 dst_sel:DWORD dst_unused:UNUSED_PAD src0_sel:DWORD src1_sel:WORD_1
	v_fma_f16 v45, v22, v67, -v23
	global_load_dwordx2 v[22:23], v46, s[8:9] offset:32
	s_waitcnt vmcnt(0) lgkmcnt(1)
	v_mul_f16_sdwa v24, v21, v22 dst_sel:DWORD dst_unused:UNUSED_PAD src0_sel:DWORD src1_sel:WORD_1
	v_fma_f16 v46, v47, v22, v24
	v_mul_f16_sdwa v24, v47, v22 dst_sel:DWORD dst_unused:UNUSED_PAD src0_sel:DWORD src1_sel:WORD_1
	v_fma_f16 v47, v21, v22, -v24
	s_waitcnt lgkmcnt(0)
	v_mul_f16_sdwa v21, v12, v23 dst_sel:DWORD dst_unused:UNUSED_PAD src0_sel:DWORD src1_sel:WORD_1
	v_fma_f16 v49, v50, v23, v21
	v_mul_f16_sdwa v21, v50, v23 dst_sel:DWORD dst_unused:UNUSED_PAD src0_sel:DWORD src1_sel:WORD_1
	v_fma_f16 v50, v12, v23, -v21
	v_mul_lo_u16_sdwa v12, v7, s4 dst_sel:DWORD dst_unused:UNUSED_PAD src0_sel:BYTE_0 src1_sel:DWORD
	v_lshrrev_b16_e32 v12, 10, v12
	v_mul_lo_u16_e32 v21, 6, v12
	v_sub_u16_e32 v7, v7, v21
	v_mul_u32_u24_sdwa v21, v7, v68 dst_sel:DWORD dst_unused:UNUSED_PAD src0_sel:BYTE_0 src1_sel:DWORD
	v_lshlrev_b32_e32 v68, 2, v21
	global_load_dwordx4 v[64:67], v68, s[8:9]
	s_waitcnt vmcnt(0)
	v_mul_f16_sdwa v21, v13, v64 dst_sel:DWORD dst_unused:UNUSED_PAD src0_sel:DWORD src1_sel:WORD_1
	v_fma_f16 v28, v58, v64, v21
	v_mul_f16_sdwa v21, v58, v64 dst_sel:DWORD dst_unused:UNUSED_PAD src0_sel:DWORD src1_sel:WORD_1
	v_fma_f16 v30, v13, v64, -v21
	v_mul_f16_sdwa v13, v17, v65 dst_sel:DWORD dst_unused:UNUSED_PAD src0_sel:DWORD src1_sel:WORD_1
	v_fma_f16 v24, v61, v65, v13
	v_mul_f16_sdwa v13, v61, v65 dst_sel:DWORD dst_unused:UNUSED_PAD src0_sel:DWORD src1_sel:WORD_1
	v_fma_f16 v26, v17, v65, -v13
	;; [unrolled: 4-line block ×3, first 2 shown]
	v_mul_f16_sdwa v13, v14, v67 dst_sel:DWORD dst_unused:UNUSED_PAD src0_sel:DWORD src1_sel:WORD_1
	v_mul_f16_sdwa v17, v51, v67 dst_sel:DWORD dst_unused:UNUSED_PAD src0_sel:DWORD src1_sel:WORD_1
	v_fma_f16 v13, v51, v67, v13
	v_fma_f16 v14, v14, v67, -v17
	global_load_dwordx4 v[64:67], v68, s[8:9] offset:16
	global_load_dwordx2 v[58:59], v68, s[8:9] offset:32
	s_waitcnt vmcnt(0)
	s_barrier
	v_mul_f16_sdwa v17, v18, v64 dst_sel:DWORD dst_unused:UNUSED_PAD src0_sel:DWORD src1_sel:WORD_1
	v_mul_f16_sdwa v51, v60, v67 dst_sel:DWORD dst_unused:UNUSED_PAD src0_sel:DWORD src1_sel:WORD_1
	v_fma_f16 v17, v27, v64, v17
	v_mul_f16_sdwa v19, v27, v64 dst_sel:DWORD dst_unused:UNUSED_PAD src0_sel:DWORD src1_sel:WORD_1
	v_mul_f16_sdwa v27, v29, v67 dst_sel:DWORD dst_unused:UNUSED_PAD src0_sel:DWORD src1_sel:WORD_1
	v_fma_f16 v29, v29, v67, -v51
	v_mul_f16_sdwa v51, v54, v58 dst_sel:DWORD dst_unused:UNUSED_PAD src0_sel:DWORD src1_sel:WORD_1
	v_fma_f16 v51, v52, v58, v51
	v_mul_f16_sdwa v52, v52, v58 dst_sel:DWORD dst_unused:UNUSED_PAD src0_sel:DWORD src1_sel:WORD_1
	v_fma_f16 v52, v54, v58, -v52
	v_mul_f16_sdwa v54, v57, v59 dst_sel:DWORD dst_unused:UNUSED_PAD src0_sel:DWORD src1_sel:WORD_1
	v_fma_f16 v18, v18, v64, -v19
	v_mul_f16_sdwa v19, v20, v65 dst_sel:DWORD dst_unused:UNUSED_PAD src0_sel:DWORD src1_sel:WORD_1
	v_mul_f16_sdwa v23, v25, v65 dst_sel:DWORD dst_unused:UNUSED_PAD src0_sel:DWORD src1_sel:WORD_1
	v_fma_f16 v54, v53, v59, v54
	v_mul_f16_sdwa v53, v53, v59 dst_sel:DWORD dst_unused:UNUSED_PAD src0_sel:DWORD src1_sel:WORD_1
	v_fma_f16 v19, v25, v65, v19
	v_fma_f16 v20, v20, v65, -v23
	v_mul_f16_sdwa v23, v63, v66 dst_sel:DWORD dst_unused:UNUSED_PAD src0_sel:DWORD src1_sel:WORD_1
	v_mul_f16_sdwa v25, v62, v66 dst_sel:DWORD dst_unused:UNUSED_PAD src0_sel:DWORD src1_sel:WORD_1
	v_fma_f16 v53, v57, v59, -v53
	v_sub_f16_e32 v59, v43, v50
	v_fma_f16 v23, v62, v66, v23
	v_fma_f16 v25, v63, v66, -v25
	v_fma_f16 v27, v60, v67, v27
	v_add_f16_e32 v58, v42, v49
	v_mul_f16_e32 v60, 0xb853, v59
	v_mul_f16_e32 v62, 0xbb47, v59
	;; [unrolled: 1-line block ×5, first 2 shown]
	v_fma_f16 v61, v58, s19, v60
	v_fma_f16 v60, v58, s19, -v60
	v_fma_f16 v63, v58, s20, v62
	v_fma_f16 v62, v58, s20, -v62
	;; [unrolled: 2-line block ×5, first 2 shown]
	v_sub_f16_e32 v59, v41, v47
	v_add_f16_e32 v57, v48, v42
	v_add_f16_e32 v61, v48, v61
	;; [unrolled: 1-line block ×12, first 2 shown]
	v_mul_f16_e32 v69, 0xbb47, v59
	v_fma_f16 v70, v58, s20, v69
	v_fma_f16 v69, v58, s20, -v69
	v_add_f16_e32 v60, v69, v60
	v_mul_f16_e32 v69, 0xba0c, v59
	v_add_f16_e32 v61, v70, v61
	v_fma_f16 v70, v58, s22, v69
	v_fma_f16 v69, v58, s22, -v69
	v_add_f16_e32 v62, v69, v62
	v_mul_f16_e32 v69, 0x3482, v59
	v_add_f16_e32 v63, v70, v63
	v_fma_f16 v70, v58, s23, v69
	v_fma_f16 v69, v58, s23, -v69
	v_add_f16_e32 v64, v69, v64
	v_mul_f16_e32 v69, 0x3beb, v59
	v_add_f16_e32 v65, v70, v65
	v_fma_f16 v70, v58, s21, v69
	v_fma_f16 v69, v58, s21, -v69
	v_mul_f16_e32 v59, 0x3853, v59
	v_add_f16_e32 v66, v69, v66
	v_fma_f16 v69, v58, s19, v59
	v_fma_f16 v58, v58, s19, -v59
	v_sub_f16_e32 v59, v37, v45
	v_add_f16_e32 v68, v69, v68
	v_add_f16_e32 v48, v58, v48
	v_add_f16_e32 v58, v36, v44
	v_mul_f16_e32 v69, 0xbbeb, v59
	v_add_f16_e32 v67, v70, v67
	v_fma_f16 v70, v58, s21, v69
	v_fma_f16 v69, v58, s21, -v69
	v_add_f16_e32 v60, v69, v60
	v_mul_f16_e32 v69, 0x3482, v59
	v_add_f16_e32 v61, v70, v61
	v_fma_f16 v70, v58, s23, v69
	v_fma_f16 v69, v58, s23, -v69
	v_add_f16_e32 v62, v69, v62
	v_mul_f16_e32 v69, 0x3b47, v59
	v_add_f16_e32 v63, v70, v63
	v_fma_f16 v70, v58, s20, v69
	v_fma_f16 v69, v58, s20, -v69
	v_add_f16_e32 v64, v69, v64
	v_mul_f16_e32 v69, 0xb853, v59
	v_add_f16_e32 v65, v70, v65
	v_fma_f16 v70, v58, s19, v69
	v_fma_f16 v69, v58, s19, -v69
	v_mul_f16_e32 v59, 0xba0c, v59
	v_add_f16_e32 v66, v69, v66
	v_fma_f16 v69, v58, s22, v59
	v_fma_f16 v58, v58, s22, -v59
	v_sub_f16_e32 v59, v31, v40
	v_add_f16_e32 v68, v69, v68
	v_add_f16_e32 v48, v58, v48
	v_add_f16_e32 v58, v16, v38
	v_mul_f16_e32 v69, 0xba0c, v59
	v_add_f16_e32 v67, v70, v67
	;; [unrolled: 27-line block ×3, first 2 shown]
	v_fma_f16 v70, v58, s23, v69
	v_fma_f16 v69, v58, s23, -v69
	v_add_f16_e32 v60, v69, v60
	v_mul_f16_e32 v69, 0x3853, v59
	v_add_f16_e32 v57, v57, v39
	v_add_f16_e32 v61, v70, v61
	v_fma_f16 v70, v58, s19, v69
	v_fma_f16 v69, v58, s19, -v69
	v_add_f16_e32 v57, v57, v36
	v_add_f16_e32 v62, v69, v62
	v_mul_f16_e32 v69, 0xba0c, v59
	v_add_f16_e32 v57, v57, v16
	v_add_f16_e32 v63, v70, v63
	v_fma_f16 v70, v58, s22, v69
	v_fma_f16 v69, v58, s22, -v69
	v_add_f16_e32 v57, v57, v32
	v_add_f16_e32 v64, v69, v64
	v_mul_f16_e32 v69, 0x3b47, v59
	v_add_f16_e32 v57, v57, v34
	v_add_f16_e32 v65, v70, v65
	v_fma_f16 v70, v58, s20, v69
	v_fma_f16 v69, v58, s20, -v69
	v_mul_f16_e32 v59, 0xbbeb, v59
	v_add_f16_e32 v57, v57, v38
	v_add_f16_e32 v66, v69, v66
	v_fma_f16 v69, v58, s21, v59
	v_fma_f16 v58, v58, s21, -v59
	v_add_f16_e32 v57, v57, v44
	v_add_f16_e32 v58, v58, v48
	v_mad_u32_u24 v48, v55, s24, 0
	v_mov_b32_e32 v55, 1
	v_add_f16_e32 v57, v57, v46
	v_lshlrev_b32_sdwa v56, v55, v56 dst_sel:DWORD dst_unused:UNUSED_PAD src0_sel:DWORD src1_sel:BYTE_0
	v_add_f16_e32 v57, v57, v49
	v_add3_u32 v48, v48, v56, v9
	v_add_f16_e32 v67, v70, v67
	v_add_f16_e32 v68, v69, v68
	ds_write_b16 v48, v57
	ds_write_b16 v48, v61 offset:12
	ds_write_b16 v48, v63 offset:24
	;; [unrolled: 1-line block ×10, first 2 shown]
	s_and_saveexec_b64 s[4:5], s[0:1]
	s_cbranch_execz .LBB0_18
; %bb.17:
	v_sub_f16_e32 v58, v30, v53
	v_add_f16_e32 v57, v28, v54
	v_mul_f16_e32 v59, 0xb482, v58
	v_sub_f16_e32 v62, v26, v52
	v_fma_f16 v60, v57, s23, -v59
	v_add_f16_e32 v61, v24, v51
	v_mul_f16_e32 v63, 0x3853, v62
	v_add_f16_e32 v60, v8, v60
	v_fma_f16 v64, v61, s19, -v63
	v_sub_f16_e32 v65, v22, v29
	v_add_f16_e32 v60, v64, v60
	v_add_f16_e32 v64, v21, v27
	v_mul_f16_e32 v66, 0xba0c, v65
	v_fma_f16 v67, v64, s22, -v66
	v_sub_f16_e32 v68, v14, v25
	v_fma_f16 v59, v57, s23, v59
	v_add_f16_e32 v60, v67, v60
	v_add_f16_e32 v67, v13, v23
	v_mul_f16_e32 v69, 0x3b47, v68
	v_add_f16_e32 v59, v8, v59
	v_fma_f16 v63, v61, s19, v63
	v_fma_f16 v70, v67, s20, -v69
	v_sub_f16_e32 v71, v18, v20
	v_add_f16_e32 v59, v63, v59
	v_fma_f16 v63, v64, s22, v66
	v_add_f16_e32 v60, v70, v60
	v_add_f16_e32 v70, v17, v19
	v_mul_f16_e32 v72, 0xbbeb, v71
	v_add_f16_e32 v59, v63, v59
	v_fma_f16 v63, v67, s20, v69
	v_add_f16_e32 v59, v63, v59
	v_fma_f16 v63, v70, s21, v72
	v_add_f16_e32 v59, v63, v59
	v_mul_f16_e32 v63, 0xba0c, v58
	v_fma_f16 v66, v57, s22, -v63
	v_mul_f16_e32 v69, 0x3beb, v62
	v_fma_f16 v73, v70, s21, -v72
	v_add_f16_e32 v66, v8, v66
	v_fma_f16 v72, v61, s21, -v69
	v_add_f16_e32 v66, v72, v66
	v_mul_f16_e32 v72, 0xb853, v65
	v_add_f16_e32 v60, v73, v60
	v_fma_f16 v73, v64, s19, -v72
	v_fma_f16 v63, v57, s22, v63
	v_add_f16_e32 v66, v73, v66
	v_mul_f16_e32 v73, 0xb482, v68
	v_add_f16_e32 v63, v8, v63
	v_fma_f16 v69, v61, s21, v69
	v_fma_f16 v74, v67, s23, -v73
	v_add_f16_e32 v63, v69, v63
	v_fma_f16 v69, v64, s19, v72
	v_add_f16_e32 v66, v74, v66
	v_mul_f16_e32 v74, 0x3b47, v71
	v_add_f16_e32 v63, v69, v63
	v_fma_f16 v69, v67, s23, v73
	v_add_f16_e32 v63, v69, v63
	v_fma_f16 v69, v70, s20, v74
	v_add_f16_e32 v63, v69, v63
	v_mul_f16_e32 v69, 0xbbeb, v58
	v_fma_f16 v72, v57, s21, -v69
	v_mul_f16_e32 v73, 0x3482, v62
	v_fma_f16 v75, v70, s20, -v74
	v_add_f16_e32 v72, v8, v72
	v_fma_f16 v74, v61, s23, -v73
	v_add_f16_e32 v72, v74, v72
	v_mul_f16_e32 v74, 0x3b47, v65
	v_add_f16_e32 v66, v75, v66
	v_fma_f16 v75, v64, s20, -v74
	v_fma_f16 v69, v57, s21, v69
	v_add_f16_e32 v72, v75, v72
	v_mul_f16_e32 v75, 0xb853, v68
	v_add_f16_e32 v69, v8, v69
	v_fma_f16 v73, v61, s23, v73
	v_fma_f16 v76, v67, s19, -v75
	v_add_f16_e32 v69, v73, v69
	v_fma_f16 v73, v64, s20, v74
	v_add_f16_e32 v72, v76, v72
	v_mul_f16_e32 v76, 0xba0c, v71
	v_add_f16_e32 v69, v73, v69
	v_fma_f16 v73, v67, s19, v75
	v_add_f16_e32 v69, v73, v69
	v_fma_f16 v73, v70, s22, v76
	v_add_f16_e32 v69, v73, v69
	v_mul_f16_e32 v73, 0xbb47, v58
	v_fma_f16 v74, v57, s20, -v73
	v_mul_f16_e32 v75, 0xba0c, v62
	v_fma_f16 v77, v70, s22, -v76
	v_add_f16_e32 v74, v8, v74
	v_fma_f16 v76, v61, s22, -v75
	v_add_f16_e32 v74, v76, v74
	v_mul_f16_e32 v76, 0x3482, v65
	v_add_f16_e32 v72, v77, v72
	v_fma_f16 v77, v64, s23, -v76
	v_fma_f16 v73, v57, s20, v73
	v_add_f16_e32 v74, v77, v74
	v_mul_f16_e32 v77, 0x3beb, v68
	v_add_f16_e32 v73, v8, v73
	v_fma_f16 v75, v61, s22, v75
	v_add_f16_e32 v56, v8, v28
	v_fma_f16 v78, v67, s21, -v77
	v_add_f16_e32 v73, v75, v73
	v_fma_f16 v75, v64, s23, v76
	v_add_f16_e32 v56, v56, v24
	v_add_f16_e32 v74, v78, v74
	v_mul_f16_e32 v78, 0x3853, v71
	v_add_f16_e32 v73, v75, v73
	v_fma_f16 v75, v67, s21, v77
	v_add_f16_e32 v56, v56, v21
	v_add_f16_e32 v73, v75, v73
	v_fma_f16 v75, v70, s19, v78
	v_mul_f16_e32 v58, 0xb853, v58
	v_add_f16_e32 v56, v56, v13
	v_add_f16_e32 v73, v75, v73
	v_fma_f16 v75, v57, s19, -v58
	v_mul_f16_e32 v62, 0xbb47, v62
	v_fma_f16 v57, v57, s19, v58
	v_add_f16_e32 v56, v56, v17
	v_add_f16_e32 v75, v8, v75
	v_mul_f16_e32 v65, 0xbbeb, v65
	v_add_f16_e32 v8, v8, v57
	v_fma_f16 v57, v61, s20, v62
	v_add_f16_e32 v56, v56, v19
	v_mul_f16_e32 v68, 0xba0c, v68
	v_add_f16_e32 v8, v57, v8
	v_fma_f16 v57, v64, s21, v65
	v_add_f16_e32 v56, v56, v23
	v_fma_f16 v76, v61, s20, -v62
	v_mul_f16_e32 v71, 0xb482, v71
	v_add_f16_e32 v8, v57, v8
	v_fma_f16 v57, v67, s22, v68
	v_add_f16_e32 v56, v56, v27
	v_add_f16_e32 v75, v76, v75
	v_fma_f16 v76, v64, s21, -v65
	v_add_f16_e32 v8, v57, v8
	v_fma_f16 v57, v70, s23, v71
	v_add_f16_e32 v56, v56, v51
	v_add_f16_e32 v75, v76, v75
	v_fma_f16 v76, v67, s22, -v68
	v_add_f16_e32 v8, v57, v8
	v_mad_u32_u24 v57, v12, s24, 0
	v_lshlrev_b32_sdwa v55, v55, v7 dst_sel:DWORD dst_unused:UNUSED_PAD src0_sel:DWORD src1_sel:BYTE_0
	v_add_f16_e32 v56, v56, v54
	v_fma_f16 v79, v70, s19, -v78
	v_add_f16_e32 v75, v76, v75
	v_fma_f16 v76, v70, s23, -v71
	v_add3_u32 v55, v57, v55, v9
	v_add_f16_e32 v74, v79, v74
	v_add_f16_e32 v75, v76, v75
	ds_write_b16 v55, v56
	ds_write_b16 v55, v8 offset:12
	ds_write_b16 v55, v73 offset:24
	;; [unrolled: 1-line block ×10, first 2 shown]
.LBB0_18:
	s_or_b64 exec, exec, s[4:5]
	v_add_f16_e32 v8, v15, v43
	v_add_f16_e32 v8, v8, v41
	;; [unrolled: 1-line block ×11, first 2 shown]
	v_sub_f16_e32 v42, v42, v49
	v_mul_f16_e32 v43, 0x3abb, v8
	v_mul_f16_e32 v50, 0x36a6, v8
	;; [unrolled: 1-line block ×4, first 2 shown]
	s_movk_i32 s19, 0x3a0c
	v_mul_f16_e32 v8, 0xbbad, v8
	v_fma_f16 v49, v42, s17, v43
	v_fma_f16 v43, v42, s10, v43
	v_fma_f16 v56, v42, s18, v50
	v_fma_f16 v50, v42, s6, v50
	v_fma_f16 v58, v42, s15, v57
	v_fma_f16 v57, v42, s7, v57
	v_fma_f16 v60, v42, s19, v59
	v_fma_f16 v59, v42, s11, v59
	v_fma_f16 v61, v42, s16, v8
	v_fma_f16 v8, v42, s14, v8
	v_add_f16_e32 v49, v15, v49
	v_add_f16_e32 v43, v15, v43
	;; [unrolled: 1-line block ×11, first 2 shown]
	v_sub_f16_e32 v39, v39, v46
	v_mul_f16_e32 v41, 0x36a6, v15
	v_fma_f16 v42, v39, s18, v41
	v_fma_f16 v41, v39, s6, v41
	v_add_f16_e32 v41, v41, v43
	v_mul_f16_e32 v43, 0xb93d, v15
	v_fma_f16 v46, v39, s19, v43
	v_fma_f16 v43, v39, s11, v43
	v_mul_f16_e32 v47, 0xbbad, v15
	v_add_f16_e32 v42, v42, v49
	v_add_f16_e32 v43, v43, v50
	v_fma_f16 v49, v39, s14, v47
	v_fma_f16 v47, v39, s16, v47
	v_mul_f16_e32 v50, 0xb08e, v15
	v_mul_f16_e32 v15, 0x3abb, v15
	v_add_f16_e32 v47, v47, v57
	v_fma_f16 v57, v39, s10, v15
	v_fma_f16 v15, v39, s17, v15
	v_add_f16_e32 v8, v15, v8
	v_add_f16_e32 v15, v37, v45
	v_sub_f16_e32 v36, v36, v44
	v_mul_f16_e32 v37, 0xb08e, v15
	v_add_f16_e32 v46, v46, v56
	v_fma_f16 v56, v39, s7, v50
	v_fma_f16 v50, v39, s15, v50
	;; [unrolled: 1-line block ×4, first 2 shown]
	v_add_f16_e32 v37, v37, v41
	v_mul_f16_e32 v41, 0xbbad, v15
	v_add_f16_e32 v39, v39, v42
	v_fma_f16 v42, v36, s14, v41
	v_fma_f16 v41, v36, s16, v41
	v_add_f16_e32 v41, v41, v43
	v_mul_f16_e32 v43, 0x36a6, v15
	v_fma_f16 v44, v36, s6, v43
	v_fma_f16 v43, v36, s18, v43
	v_mul_f16_e32 v45, 0x3abb, v15
	v_mul_f16_e32 v15, 0xb93d, v15
	v_add_f16_e32 v43, v43, v47
	v_fma_f16 v47, v36, s19, v15
	v_fma_f16 v15, v36, s11, v15
	v_add_f16_e32 v8, v15, v8
	v_add_f16_e32 v15, v31, v40
	v_sub_f16_e32 v16, v16, v38
	v_mul_f16_e32 v31, 0xb93d, v15
	v_add_f16_e32 v42, v42, v46
	v_fma_f16 v46, v36, s17, v45
	v_fma_f16 v45, v36, s10, v45
	;; [unrolled: 1-line block ×4, first 2 shown]
	v_add_f16_e32 v31, v31, v37
	v_mul_f16_e32 v37, 0xb08e, v15
	v_add_f16_e32 v36, v36, v39
	v_fma_f16 v38, v16, s7, v37
	v_fma_f16 v37, v16, s15, v37
	v_mul_f16_e32 v39, 0x3abb, v15
	v_add_f16_e32 v37, v37, v41
	v_fma_f16 v40, v16, s17, v39
	v_fma_f16 v39, v16, s10, v39
	v_mul_f16_e32 v41, 0xbbad, v15
	v_mul_f16_e32 v15, 0x36a6, v15
	v_add_f16_e32 v39, v39, v43
	v_fma_f16 v43, v16, s6, v15
	v_fma_f16 v15, v16, s18, v15
	v_add_f16_e32 v8, v15, v8
	v_add_f16_e32 v15, v33, v35
	;; [unrolled: 1-line block ×3, first 2 shown]
	v_fma_f16 v42, v16, s16, v41
	v_fma_f16 v41, v16, s14, v41
	v_sub_f16_e32 v16, v32, v34
	v_mul_f16_e32 v32, 0xbbad, v15
	v_add_f16_e32 v56, v56, v60
	v_fma_f16 v33, v16, s16, v32
	v_fma_f16 v32, v16, s14, v32
	v_add_f16_e32 v46, v46, v56
	v_add_f16_e32 v56, v32, v31
	v_mul_f16_e32 v31, 0x3abb, v15
	v_fma_f16 v32, v16, s10, v31
	v_fma_f16 v31, v16, s17, v31
	v_add_f16_e32 v49, v49, v58
	v_add_f16_e32 v57, v57, v61
	;; [unrolled: 1-line block ×3, first 2 shown]
	v_mul_f16_e32 v31, 0xb93d, v15
	v_add_f16_e32 v50, v50, v59
	v_add_f16_e32 v44, v44, v49
	;; [unrolled: 1-line block ×4, first 2 shown]
	v_fma_f16 v32, v16, s19, v31
	v_fma_f16 v31, v16, s11, v31
	v_add_f16_e32 v45, v45, v50
	v_add_f16_e32 v40, v40, v44
	;; [unrolled: 1-line block ×3, first 2 shown]
	v_mul_f16_e32 v31, 0x36a6, v15
	v_add_f16_e32 v41, v41, v45
	v_add_f16_e32 v59, v32, v40
	v_fma_f16 v32, v16, s6, v31
	v_fma_f16 v31, v16, s18, v31
	v_mul_f16_e32 v15, 0xb08e, v15
	v_add_f16_e32 v62, v31, v41
	v_fma_f16 v31, v16, s15, v15
	v_fma_f16 v15, v16, s7, v15
	v_add_f16_e32 v42, v42, v46
	v_add_f16_e32 v43, v43, v47
	;; [unrolled: 1-line block ×3, first 2 shown]
	v_add3_u32 v15, 0, v6, v9
	v_lshlrev_b32_e32 v8, 1, v5
	v_add_f16_e32 v50, v33, v36
	v_add_f16_e32 v61, v32, v42
	;; [unrolled: 1-line block ×3, first 2 shown]
	s_waitcnt lgkmcnt(0)
	s_barrier
	v_add3_u32 v16, 0, v8, v9
	ds_read_u16 v38, v15
	ds_read_u16 v37, v16
	;; [unrolled: 1-line block ×3, first 2 shown]
	ds_read_u16 v36, v11 offset:396
	ds_read_u16 v35, v11 offset:528
	;; [unrolled: 1-line block ×15, first 2 shown]
	s_waitcnt lgkmcnt(0)
	s_barrier
	ds_write_b16 v48, v55
	ds_write_b16 v48, v50 offset:12
	ds_write_b16 v48, v57 offset:24
	;; [unrolled: 1-line block ×10, first 2 shown]
	s_and_saveexec_b64 s[4:5], s[0:1]
	s_cbranch_execz .LBB0_20
; %bb.19:
	v_add_f16_e32 v48, v1, v30
	v_add_f16_e32 v48, v48, v26
	;; [unrolled: 1-line block ×10, first 2 shown]
	v_sub_f16_e32 v28, v28, v54
	v_mul_f16_e32 v50, 0x3abb, v30
	s_movk_i32 s0, 0x3853
	s_mov_b32 s1, 0xb853
	v_mul_f16_e32 v54, 0x36a6, v30
	s_movk_i32 s6, 0x3b47
	s_mov_b32 s7, 0xbb47
	;; [unrolled: 3-line block ×3, first 2 shown]
	v_mul_f16_e32 v58, 0xb93d, v30
	s_mov_b32 s14, 0xba0c
	v_mul_f16_e32 v30, 0xbbad, v30
	s_movk_i32 s15, 0x3482
	s_mov_b32 s16, 0xb482
	v_add_f16_e32 v48, v48, v53
	v_fma_f16 v53, v28, s0, v50
	v_fma_f16 v50, v28, s1, v50
	;; [unrolled: 1-line block ×10, first 2 shown]
	v_add_f16_e32 v26, v26, v52
	v_add_f16_e32 v53, v1, v53
	;; [unrolled: 1-line block ×11, first 2 shown]
	v_sub_f16_e32 v24, v24, v51
	v_mul_f16_e32 v28, 0x36a6, v26
	v_fma_f16 v30, v24, s6, v28
	v_fma_f16 v28, v24, s7, v28
	v_add_f16_e32 v28, v28, v50
	v_mul_f16_e32 v50, 0xb93d, v26
	v_fma_f16 v51, v24, s19, v50
	v_fma_f16 v50, v24, s14, v50
	v_mul_f16_e32 v52, 0xbbad, v26
	v_add_f16_e32 v30, v30, v53
	v_add_f16_e32 v50, v50, v54
	v_fma_f16 v53, v24, s16, v52
	v_fma_f16 v52, v24, s15, v52
	v_mul_f16_e32 v54, 0xb08e, v26
	v_mul_f16_e32 v26, 0x3abb, v26
	v_add_f16_e32 v51, v51, v55
	v_add_f16_e32 v52, v52, v56
	v_fma_f16 v55, v24, s11, v54
	v_fma_f16 v54, v24, s10, v54
	v_fma_f16 v56, v24, s1, v26
	v_fma_f16 v24, v24, s0, v26
	v_add_f16_e32 v22, v22, v29
	v_add_f16_e32 v1, v24, v1
	v_sub_f16_e32 v21, v21, v27
	v_mul_f16_e32 v24, 0xb08e, v22
	v_fma_f16 v26, v21, s10, v24
	v_fma_f16 v24, v21, s11, v24
	v_mul_f16_e32 v27, 0xbbad, v22
	v_add_f16_e32 v24, v24, v28
	v_fma_f16 v28, v21, s16, v27
	v_fma_f16 v27, v21, s15, v27
	v_mul_f16_e32 v29, 0x36a6, v22
	v_add_f16_e32 v26, v26, v30
	v_add_f16_e32 v27, v27, v50
	v_fma_f16 v30, v21, s7, v29
	v_fma_f16 v29, v21, s6, v29
	v_mul_f16_e32 v50, 0x3abb, v22
	v_mul_f16_e32 v22, 0xb93d, v22
	v_add_f16_e32 v28, v28, v51
	v_add_f16_e32 v29, v29, v52
	v_fma_f16 v51, v21, s0, v50
	v_fma_f16 v50, v21, s1, v50
	v_fma_f16 v52, v21, s19, v22
	v_fma_f16 v21, v21, s14, v22
	v_add_f16_e32 v14, v14, v25
	v_add_f16_e32 v1, v21, v1
	v_sub_f16_e32 v13, v13, v23
	v_mul_f16_e32 v21, 0xb93d, v14
	v_fma_f16 v22, v13, s19, v21
	v_fma_f16 v21, v13, s14, v21
	v_mul_f16_e32 v23, 0xb08e, v14
	v_add_f16_e32 v21, v21, v24
	v_fma_f16 v24, v13, s11, v23
	v_fma_f16 v23, v13, s10, v23
	v_mul_f16_e32 v25, 0x3abb, v14
	v_add_f16_e32 v22, v22, v26
	v_add_f16_e32 v23, v23, v27
	v_fma_f16 v26, v13, s0, v25
	v_fma_f16 v25, v13, s1, v25
	v_mul_f16_e32 v27, 0xbbad, v14
	v_mul_f16_e32 v14, 0x36a6, v14
	v_add_f16_e32 v24, v24, v28
	v_add_f16_e32 v25, v25, v29
	v_fma_f16 v28, v13, s15, v27
	v_fma_f16 v27, v13, s16, v27
	v_fma_f16 v29, v13, s7, v14
	v_fma_f16 v13, v13, s6, v14
	v_add_f16_e32 v1, v13, v1
	v_add_f16_e32 v13, v18, v20
	v_sub_f16_e32 v14, v17, v19
	v_mul_f16_e32 v17, 0xbbad, v13
	v_fma_f16 v18, v14, s15, v17
	v_fma_f16 v17, v14, s16, v17
	v_mul_f16_e32 v19, 0x3abb, v13
	v_add_f16_e32 v17, v17, v21
	v_fma_f16 v20, v14, s1, v19
	v_fma_f16 v19, v14, s0, v19
	v_mul_f16_e32 v21, 0xb93d, v13
	v_add_f16_e32 v18, v18, v22
	v_add_f16_e32 v19, v19, v23
	v_fma_f16 v22, v14, s19, v21
	v_fma_f16 v21, v14, s14, v21
	v_mul_f16_e32 v23, 0x36a6, v13
	v_mul_f16_e32 v13, 0xb08e, v13
	v_add_f16_e32 v21, v21, v25
	v_fma_f16 v25, v14, s10, v13
	v_fma_f16 v13, v14, s11, v13
	v_add_f16_e32 v53, v53, v57
	v_add_f16_e32 v55, v55, v59
	;; [unrolled: 1-line block ×5, first 2 shown]
	s_movk_i32 s0, 0x84
	v_mov_b32_e32 v13, 1
	v_add_f16_e32 v30, v30, v53
	v_add_f16_e32 v51, v51, v55
	;; [unrolled: 1-line block ×4, first 2 shown]
	v_mad_u32_u24 v12, v12, s0, 0
	v_lshlrev_b32_sdwa v7, v13, v7 dst_sel:DWORD dst_unused:UNUSED_PAD src0_sel:DWORD src1_sel:BYTE_0
	v_add_f16_e32 v26, v26, v30
	v_add_f16_e32 v28, v28, v51
	;; [unrolled: 1-line block ×5, first 2 shown]
	v_fma_f16 v24, v14, s7, v23
	v_fma_f16 v23, v14, s6, v23
	v_add3_u32 v7, v12, v7, v9
	v_add_f16_e32 v22, v22, v26
	v_add_f16_e32 v24, v24, v28
	;; [unrolled: 1-line block ×4, first 2 shown]
	ds_write_b16 v7, v48
	ds_write_b16 v7, v18 offset:12
	ds_write_b16 v7, v20 offset:24
	;; [unrolled: 1-line block ×10, first 2 shown]
.LBB0_20:
	s_or_b64 exec, exec, s[4:5]
	v_mov_b32_e32 v1, 0
	v_lshlrev_b64 v[19:20], 2, v[0:1]
	v_mov_b32_e32 v21, s9
	v_add_co_u32_e64 v19, s[0:1], s8, v19
	v_addc_co_u32_e64 v20, s[0:1], v21, v20, s[0:1]
	s_movk_i32 s0, 0xf9
	v_mul_lo_u16_sdwa v22, v5, s0 dst_sel:DWORD dst_unused:UNUSED_PAD src0_sel:BYTE_0 src1_sel:DWORD
	v_add_u32_e32 v14, 0xc6, v0
	v_lshrrev_b16_e32 v22, 14, v22
	s_mov_b32 s0, 0xf83f
	v_mul_lo_u16_e32 v22, 0x42, v22
	v_mul_u32_u24_sdwa v23, v14, s0 dst_sel:DWORD dst_unused:UNUSED_PAD src0_sel:WORD_0 src1_sel:DWORD
	v_add_u32_e32 v13, 0x108, v0
	s_waitcnt lgkmcnt(0)
	s_barrier
	v_sub_u16_e32 v5, v5, v22
	v_mov_b32_e32 v22, 2
	v_lshrrev_b32_e32 v23, 22, v23
	global_load_dword v19, v[19:20], off offset:240
	v_lshlrev_b32_sdwa v22, v22, v5 dst_sel:DWORD dst_unused:UNUSED_PAD src0_sel:DWORD src1_sel:BYTE_0
	v_mul_lo_u16_e32 v23, 0x42, v23
	v_mul_u32_u24_sdwa v25, v13, s0 dst_sel:DWORD dst_unused:UNUSED_PAD src0_sel:WORD_0 src1_sel:DWORD
	v_add_u32_e32 v12, 0x14a, v0
	v_sub_u16_e32 v23, v14, v23
	v_lshrrev_b32_e32 v20, 22, v25
	global_load_dword v22, v22, s[8:9] offset:240
	v_lshlrev_b32_e32 v24, 2, v23
	global_load_dword v24, v24, s[8:9] offset:240
	v_mul_lo_u16_e32 v20, 0x42, v20
	v_mul_u32_u24_sdwa v27, v12, s0 dst_sel:DWORD dst_unused:UNUSED_PAD src0_sel:WORD_0 src1_sel:DWORD
	v_add_u32_e32 v18, 0x18c, v0
	v_sub_u16_e32 v20, v13, v20
	v_lshrrev_b32_e32 v28, 22, v27
	v_lshlrev_b32_e32 v26, 2, v20
	global_load_dword v26, v26, s[8:9] offset:240
	v_mul_lo_u16_e32 v28, 0x42, v28
	v_mul_u32_u24_sdwa v30, v18, s0 dst_sel:DWORD dst_unused:UNUSED_PAD src0_sel:WORD_0 src1_sel:DWORD
	v_add_u32_e32 v17, 0x1ce, v0
	v_sub_u16_e32 v28, v12, v28
	v_lshrrev_b32_e32 v30, 22, v30
	;; [unrolled: 7-line block ×3, first 2 shown]
	v_lshlrev_b32_e32 v48, 2, v30
	global_load_dword v48, v48, s[8:9] offset:240
	v_mul_lo_u16_e32 v50, 0x42, v50
	v_mul_u32_u24_sdwa v52, v7, s0 dst_sel:DWORD dst_unused:UNUSED_PAD src0_sel:WORD_0 src1_sel:DWORD
	v_sub_u16_e32 v50, v17, v50
	v_lshrrev_b32_e32 v52, 22, v52
	v_lshlrev_b32_e32 v51, 2, v50
	global_load_dword v51, v51, s[8:9] offset:240
	v_mul_lo_u16_e32 v52, 0x42, v52
	v_sub_u16_e32 v7, v7, v52
	v_lshlrev_b32_e32 v52, 2, v7
	global_load_dword v52, v52, s[8:9] offset:240
	ds_read_u16 v53, v15
	ds_read_u16 v54, v16
	;; [unrolled: 1-line block ×3, first 2 shown]
	ds_read_u16 v56, v11 offset:396
	ds_read_u16 v57, v11 offset:528
	;; [unrolled: 1-line block ×15, first 2 shown]
	s_waitcnt vmcnt(0) lgkmcnt(0)
	s_barrier
	v_lshlrev_b32_e32 v23, 1, v23
	v_lshlrev_b32_e32 v20, 1, v20
	;; [unrolled: 1-line block ×4, first 2 shown]
	v_add3_u32 v23, 0, v23, v9
	v_add3_u32 v20, 0, v20, v9
	;; [unrolled: 1-line block ×4, first 2 shown]
	v_lshlrev_b32_e32 v7, 1, v7
	v_add3_u32 v7, 0, v7, v9
	v_mul_f16_sdwa v71, v61, v19 dst_sel:DWORD dst_unused:UNUSED_PAD src0_sel:DWORD src1_sel:WORD_1
	v_mul_f16_sdwa v73, v63, v19 dst_sel:DWORD dst_unused:UNUSED_PAD src0_sel:DWORD src1_sel:WORD_1
	;; [unrolled: 1-line block ×3, first 2 shown]
	v_fma_f16 v47, v47, v19, v71
	v_fma_f16 v71, v49, v19, v73
	v_mul_f16_sdwa v49, v49, v19 dst_sel:DWORD dst_unused:UNUSED_PAD src0_sel:DWORD src1_sel:WORD_1
	v_fma_f16 v61, v61, v19, -v72
	v_fma_f16 v19, v63, v19, -v49
	v_mul_f16_sdwa v49, v64, v22 dst_sel:DWORD dst_unused:UNUSED_PAD src0_sel:DWORD src1_sel:WORD_1
	v_fma_f16 v49, v46, v22, v49
	v_mul_f16_sdwa v46, v46, v22 dst_sel:DWORD dst_unused:UNUSED_PAD src0_sel:DWORD src1_sel:WORD_1
	v_fma_f16 v22, v64, v22, -v46
	v_mul_f16_sdwa v46, v65, v24 dst_sel:DWORD dst_unused:UNUSED_PAD src0_sel:DWORD src1_sel:WORD_1
	v_fma_f16 v46, v45, v24, v46
	v_mul_f16_sdwa v45, v45, v24 dst_sel:DWORD dst_unused:UNUSED_PAD src0_sel:DWORD src1_sel:WORD_1
	;; [unrolled: 4-line block ×3, first 2 shown]
	v_fma_f16 v26, v66, v26, -v44
	v_sub_f16_e32 v47, v39, v47
	v_fma_f16 v39, v39, 2.0, -v47
	v_sub_f16_e32 v49, v37, v49
	v_mul_f16_sdwa v44, v67, v29 dst_sel:DWORD dst_unused:UNUSED_PAD src0_sel:DWORD src1_sel:WORD_1
	v_fma_f16 v44, v43, v29, v44
	v_mul_f16_sdwa v43, v43, v29 dst_sel:DWORD dst_unused:UNUSED_PAD src0_sel:DWORD src1_sel:WORD_1
	v_fma_f16 v29, v67, v29, -v43
	v_sub_f16_e32 v46, v36, v46
	v_sub_f16_e32 v45, v35, v45
	v_sub_f16_e32 v44, v34, v44
	v_mul_f16_sdwa v43, v68, v48 dst_sel:DWORD dst_unused:UNUSED_PAD src0_sel:DWORD src1_sel:WORD_1
	v_fma_f16 v43, v42, v48, v43
	v_mul_f16_sdwa v42, v42, v48 dst_sel:DWORD dst_unused:UNUSED_PAD src0_sel:DWORD src1_sel:WORD_1
	v_fma_f16 v42, v68, v48, -v42
	v_sub_f16_e32 v43, v33, v43
	v_fma_f16 v37, v37, 2.0, -v49
	v_mul_f16_sdwa v48, v69, v51 dst_sel:DWORD dst_unused:UNUSED_PAD src0_sel:DWORD src1_sel:WORD_1
	v_fma_f16 v48, v41, v51, v48
	v_mul_f16_sdwa v41, v41, v51 dst_sel:DWORD dst_unused:UNUSED_PAD src0_sel:DWORD src1_sel:WORD_1
	v_fma_f16 v41, v69, v51, -v41
	v_mul_f16_sdwa v51, v70, v52 dst_sel:DWORD dst_unused:UNUSED_PAD src0_sel:DWORD src1_sel:WORD_1
	v_fma_f16 v51, v40, v52, v51
	v_mul_f16_sdwa v40, v40, v52 dst_sel:DWORD dst_unused:UNUSED_PAD src0_sel:DWORD src1_sel:WORD_1
	v_fma_f16 v40, v70, v52, -v40
	v_sub_f16_e32 v52, v55, v61
	v_sub_f16_e32 v61, v38, v71
	v_fma_f16 v38, v38, 2.0, -v61
	ds_write_b16 v11, v39
	ds_write_b16 v11, v47 offset:132
	ds_write_b16 v11, v38 offset:264
	;; [unrolled: 1-line block ×3, first 2 shown]
	v_mov_b32_e32 v38, 1
	v_lshlrev_b32_sdwa v5, v38, v5 dst_sel:DWORD dst_unused:UNUSED_PAD src0_sel:DWORD src1_sel:BYTE_0
	v_fma_f16 v36, v36, 2.0, -v46
	v_fma_f16 v35, v35, 2.0, -v45
	v_fma_f16 v34, v34, 2.0, -v44
	v_fma_f16 v33, v33, 2.0, -v43
	v_add3_u32 v5, 0, v5, v9
	v_sub_f16_e32 v48, v32, v48
	v_sub_f16_e32 v51, v31, v51
	ds_write_b16 v5, v37 offset:528
	ds_write_b16 v5, v49 offset:660
	;; [unrolled: 1-line block ×10, first 2 shown]
	v_lshlrev_b32_e32 v33, 1, v50
	v_fma_f16 v55, v55, 2.0, -v52
	v_sub_f16_e32 v19, v53, v19
	v_sub_f16_e32 v22, v54, v22
	;; [unrolled: 1-line block ×7, first 2 shown]
	v_fma_f16 v32, v32, 2.0, -v48
	v_sub_f16_e32 v40, v62, v40
	v_fma_f16 v31, v31, 2.0, -v51
	v_add3_u32 v33, 0, v33, v9
	v_fma_f16 v53, v53, 2.0, -v19
	v_fma_f16 v54, v54, 2.0, -v22
	v_fma_f16 v56, v56, 2.0, -v24
	v_fma_f16 v57, v57, 2.0, -v26
	v_fma_f16 v58, v58, 2.0, -v29
	v_fma_f16 v59, v59, 2.0, -v42
	v_fma_f16 v60, v60, 2.0, -v41
	v_fma_f16 v62, v62, 2.0, -v40
	ds_write_b16 v33, v32 offset:1848
	ds_write_b16 v33, v48 offset:1980
	;; [unrolled: 1-line block ×4, first 2 shown]
	s_waitcnt lgkmcnt(0)
	s_barrier
	ds_read_u16 v31, v15
	ds_read_u16 v32, v16
	ds_read_u16 v34, v11 offset:924
	ds_read_u16 v35, v11 offset:1056
	;; [unrolled: 1-line block ×3, first 2 shown]
	ds_read_u16 v37, v10
	ds_read_u16 v38, v11 offset:396
	ds_read_u16 v39, v11 offset:528
	;; [unrolled: 1-line block ×12, first 2 shown]
	s_waitcnt lgkmcnt(0)
	s_barrier
	ds_write_b16 v11, v55
	ds_write_b16 v11, v52 offset:132
	ds_write_b16 v11, v53 offset:264
	;; [unrolled: 1-line block ×17, first 2 shown]
	v_mov_b32_e32 v5, v1
	v_lshlrev_b64 v[4:5], 2, v[4:5]
	v_mov_b32_e32 v7, v1
	v_add_co_u32_e64 v4, s[0:1], s8, v4
	v_addc_co_u32_e64 v5, s[0:1], v21, v5, s[0:1]
	s_waitcnt lgkmcnt(0)
	s_barrier
	global_load_dwordx2 v[19:20], v[4:5], off offset:504
	v_lshlrev_b64 v[6:7], 2, v[6:7]
	v_lshrrev_b32_e32 v23, 23, v25
	v_add_co_u32_e64 v6, s[0:1], s8, v6
	v_addc_co_u32_e64 v7, s[0:1], v21, v7, s[0:1]
	global_load_dwordx2 v[21:22], v[6:7], off offset:504
	v_mul_lo_u16_e32 v23, 0x84, v23
	v_sub_u16_e32 v28, v13, v23
	v_lshlrev_b32_e32 v23, 3, v28
	v_lshrrev_b32_e32 v25, 23, v27
	global_load_dwordx2 v[23:24], v23, s[8:9] offset:504
	v_mul_lo_u16_e32 v25, 0x84, v25
	v_sub_u16_e32 v27, v12, v25
	v_lshlrev_b32_e32 v25, 3, v27
	global_load_dwordx2 v[25:26], v25, s[8:9] offset:504
	ds_read_u16 v29, v15
	ds_read_u16 v30, v16
	ds_read_u16 v33, v11 offset:924
	ds_read_u16 v40, v11 offset:1056
	;; [unrolled: 1-line block ×3, first 2 shown]
	ds_read_u16 v42, v10
	ds_read_u16 v52, v11 offset:396
	ds_read_u16 v53, v11 offset:528
	;; [unrolled: 1-line block ×12, first 2 shown]
	s_mov_b32 s0, 0xbaee
	s_movk_i32 s1, 0x3aee
	v_lshlrev_b32_e32 v28, 1, v28
	v_lshlrev_b32_e32 v27, 1, v27
	s_waitcnt vmcnt(0) lgkmcnt(0)
	s_barrier
	v_mul_f16_sdwa v65, v55, v19 dst_sel:DWORD dst_unused:UNUSED_PAD src0_sel:DWORD src1_sel:WORD_1
	v_fma_f16 v65, v44, v19, v65
	v_mul_f16_sdwa v44, v44, v19 dst_sel:DWORD dst_unused:UNUSED_PAD src0_sel:DWORD src1_sel:WORD_1
	v_fma_f16 v44, v55, v19, -v44
	v_mul_f16_sdwa v55, v63, v20 dst_sel:DWORD dst_unused:UNUSED_PAD src0_sel:DWORD src1_sel:WORD_1
	v_fma_f16 v55, v51, v20, v55
	v_mul_f16_sdwa v51, v51, v20 dst_sel:DWORD dst_unused:UNUSED_PAD src0_sel:DWORD src1_sel:WORD_1
	v_fma_f16 v51, v63, v20, -v51
	;; [unrolled: 4-line block ×5, first 2 shown]
	v_mul_f16_sdwa v35, v58, v20 dst_sel:DWORD dst_unused:UNUSED_PAD src0_sel:DWORD src1_sel:WORD_1
	v_mul_f16_sdwa v40, v47, v20 dst_sel:DWORD dst_unused:UNUSED_PAD src0_sel:DWORD src1_sel:WORD_1
	v_fma_f16 v35, v47, v20, v35
	v_fma_f16 v20, v58, v20, -v40
	v_mul_f16_sdwa v40, v41, v21 dst_sel:DWORD dst_unused:UNUSED_PAD src0_sel:DWORD src1_sel:WORD_1
	v_fma_f16 v40, v36, v21, v40
	v_mul_f16_sdwa v36, v36, v21 dst_sel:DWORD dst_unused:UNUSED_PAD src0_sel:DWORD src1_sel:WORD_1
	v_fma_f16 v21, v41, v21, -v36
	v_mul_f16_sdwa v36, v59, v22 dst_sel:DWORD dst_unused:UNUSED_PAD src0_sel:DWORD src1_sel:WORD_1
	v_mul_f16_sdwa v41, v48, v22 dst_sel:DWORD dst_unused:UNUSED_PAD src0_sel:DWORD src1_sel:WORD_1
	v_fma_f16 v36, v48, v22, v36
	v_fma_f16 v22, v59, v22, -v41
	v_mul_f16_sdwa v41, v54, v23 dst_sel:DWORD dst_unused:UNUSED_PAD src0_sel:DWORD src1_sel:WORD_1
	v_fma_f16 v41, v43, v23, v41
	v_mul_f16_sdwa v43, v43, v23 dst_sel:DWORD dst_unused:UNUSED_PAD src0_sel:DWORD src1_sel:WORD_1
	v_fma_f16 v23, v54, v23, -v43
	v_mul_f16_sdwa v43, v60, v24 dst_sel:DWORD dst_unused:UNUSED_PAD src0_sel:DWORD src1_sel:WORD_1
	v_mul_f16_sdwa v47, v49, v24 dst_sel:DWORD dst_unused:UNUSED_PAD src0_sel:DWORD src1_sel:WORD_1
	v_fma_f16 v43, v49, v24, v43
	v_fma_f16 v24, v60, v24, -v47
	v_mul_f16_sdwa v47, v64, v25 dst_sel:DWORD dst_unused:UNUSED_PAD src0_sel:DWORD src1_sel:WORD_1
	v_mul_f16_sdwa v48, v61, v25 dst_sel:DWORD dst_unused:UNUSED_PAD src0_sel:DWORD src1_sel:WORD_1
	v_fma_f16 v47, v61, v25, v47
	v_fma_f16 v25, v64, v25, -v48
	v_mul_f16_sdwa v48, v62, v26 dst_sel:DWORD dst_unused:UNUSED_PAD src0_sel:DWORD src1_sel:WORD_1
	v_fma_f16 v48, v50, v26, v48
	v_mul_f16_sdwa v49, v50, v26 dst_sel:DWORD dst_unused:UNUSED_PAD src0_sel:DWORD src1_sel:WORD_1
	v_add_f16_e32 v50, v65, v55
	v_fma_f16 v26, v62, v26, -v49
	v_add_f16_e32 v49, v37, v65
	v_fma_f16 v37, v50, -0.5, v37
	v_sub_f16_e32 v50, v44, v51
	v_fma_f16 v54, v50, s0, v37
	v_fma_f16 v37, v50, s1, v37
	v_add_f16_e32 v50, v42, v44
	v_add_f16_e32 v44, v44, v51
	;; [unrolled: 1-line block ×3, first 2 shown]
	v_fma_f16 v42, v44, -0.5, v42
	v_sub_f16_e32 v44, v65, v55
	v_add_f16_e32 v55, v63, v34
	v_add_f16_e32 v50, v50, v51
	v_fma_f16 v51, v44, s1, v42
	v_fma_f16 v42, v44, s0, v42
	v_add_f16_e32 v44, v31, v63
	v_fma_f16 v31, v55, -0.5, v31
	v_sub_f16_e32 v55, v33, v46
	v_fma_f16 v58, v55, s0, v31
	v_fma_f16 v31, v55, s1, v31
	v_add_f16_e32 v55, v29, v33
	v_add_f16_e32 v33, v33, v46
	v_fma_f16 v29, v33, -0.5, v29
	v_sub_f16_e32 v33, v63, v34
	v_add_f16_e32 v55, v55, v46
	v_fma_f16 v46, v33, s1, v29
	v_fma_f16 v59, v33, s0, v29
	v_add_f16_e32 v33, v57, v35
	v_add_f16_e32 v29, v32, v57
	v_fma_f16 v32, v33, -0.5, v32
	v_sub_f16_e32 v33, v19, v20
	v_add_f16_e32 v44, v44, v34
	v_fma_f16 v34, v33, s0, v32
	v_fma_f16 v32, v33, s1, v32
	v_add_f16_e32 v33, v30, v19
	v_add_f16_e32 v19, v19, v20
	;; [unrolled: 1-line block ×3, first 2 shown]
	v_fma_f16 v19, v19, -0.5, v30
	v_sub_f16_e32 v20, v57, v35
	v_fma_f16 v57, v20, s1, v19
	v_fma_f16 v61, v20, s0, v19
	v_add_f16_e32 v20, v40, v36
	v_fma_f16 v20, v20, -0.5, v38
	v_sub_f16_e32 v30, v21, v22
	v_fma_f16 v33, v30, s0, v20
	v_fma_f16 v20, v30, s1, v20
	v_add_f16_e32 v30, v52, v21
	v_add_f16_e32 v21, v21, v22
	;; [unrolled: 1-line block ×4, first 2 shown]
	v_fma_f16 v21, v21, -0.5, v52
	v_sub_f16_e32 v22, v40, v36
	v_fma_f16 v40, v22, s1, v21
	v_fma_f16 v52, v22, s0, v21
	v_add_f16_e32 v22, v41, v43
	v_fma_f16 v22, v22, -0.5, v39
	v_sub_f16_e32 v30, v23, v24
	v_add_f16_e32 v29, v29, v35
	v_fma_f16 v35, v30, s0, v22
	v_fma_f16 v22, v30, s1, v22
	v_add_f16_e32 v30, v53, v23
	v_add_f16_e32 v23, v23, v24
	;; [unrolled: 1-line block ×4, first 2 shown]
	v_fma_f16 v23, v23, -0.5, v53
	v_sub_f16_e32 v24, v41, v43
	v_add_f16_e32 v21, v21, v43
	v_fma_f16 v41, v24, s1, v23
	v_fma_f16 v43, v24, s0, v23
	v_add_f16_e32 v24, v47, v48
	v_fma_f16 v24, v24, -0.5, v45
	v_sub_f16_e32 v30, v25, v26
	v_add_f16_e32 v19, v19, v36
	v_add_f16_e32 v23, v45, v47
	v_fma_f16 v36, v30, s0, v24
	v_fma_f16 v24, v30, s1, v24
	v_add_f16_e32 v30, v56, v25
	v_add_f16_e32 v25, v25, v26
	;; [unrolled: 1-line block ×4, first 2 shown]
	v_fma_f16 v25, v25, -0.5, v56
	v_sub_f16_e32 v26, v47, v48
	ds_write_b16 v11, v49
	ds_write_b16 v11, v54 offset:264
	ds_write_b16 v11, v37 offset:528
	ds_write_b16 v15, v44
	ds_write_b16 v15, v58 offset:264
	ds_write_b16 v15, v31 offset:528
	;; [unrolled: 1-line block ×8, first 2 shown]
	v_add3_u32 v37, 0, v28, v9
	v_add3_u32 v9, 0, v27, v9
	v_fma_f16 v47, v26, s1, v25
	v_fma_f16 v48, v26, s0, v25
	ds_write_b16 v37, v21 offset:1584
	ds_write_b16 v37, v35 offset:1848
	;; [unrolled: 1-line block ×6, first 2 shown]
	s_waitcnt lgkmcnt(0)
	s_barrier
	ds_read_u16 v20, v15
	ds_read_u16 v24, v16
	ds_read_u16 v23, v11 offset:924
	ds_read_u16 v26, v11 offset:1056
	;; [unrolled: 1-line block ×3, first 2 shown]
	ds_read_u16 v19, v10
	ds_read_u16 v28, v11 offset:396
	ds_read_u16 v31, v11 offset:528
	;; [unrolled: 1-line block ×12, first 2 shown]
	s_waitcnt lgkmcnt(0)
	s_barrier
	ds_write_b16 v11, v50
	ds_write_b16 v11, v51 offset:264
	ds_write_b16 v11, v42 offset:528
	ds_write_b16 v15, v55
	ds_write_b16 v15, v46 offset:264
	ds_write_b16 v15, v59 offset:528
	;; [unrolled: 1-line block ×14, first 2 shown]
	s_waitcnt lgkmcnt(0)
	s_barrier
	s_and_saveexec_b64 s[4:5], vcc
	s_cbranch_execz .LBB0_22
; %bb.21:
	v_lshlrev_b32_e32 v37, 1, v12
	v_mov_b32_e32 v38, v1
	v_lshlrev_b64 v[37:38], 2, v[37:38]
	v_lshlrev_b32_e32 v39, 1, v13
	v_mov_b32_e32 v40, v1
	v_mov_b32_e32 v43, s9
	v_add_co_u32_e32 v37, vcc, s8, v37
	v_lshlrev_b64 v[39:40], 2, v[39:40]
	v_addc_co_u32_e32 v38, vcc, v43, v38, vcc
	v_add_co_u32_e32 v39, vcc, s8, v39
	global_load_dwordx2 v[37:38], v[37:38], off offset:1560
	v_addc_co_u32_e32 v40, vcc, v43, v40, vcc
	global_load_dwordx2 v[39:40], v[39:40], off offset:1560
	v_lshlrev_b32_e32 v41, 1, v14
	v_mov_b32_e32 v42, v1
	v_lshlrev_b64 v[41:42], 2, v[41:42]
	v_mov_b32_e32 v9, v1
	v_add_co_u32_e32 v41, vcc, s8, v41
	v_addc_co_u32_e32 v42, vcc, v43, v42, vcc
	global_load_dwordx2 v[41:42], v[41:42], off offset:1560
	v_lshlrev_b64 v[8:9], 2, v[8:9]
	v_add_co_u32_e32 v8, vcc, s8, v8
	v_addc_co_u32_e32 v9, vcc, v43, v9, vcc
	global_load_dwordx2 v[8:9], v[8:9], off offset:1560
	ds_read_u16 v1, v11 offset:2244
	ds_read_u16 v47, v11 offset:2112
	;; [unrolled: 1-line block ×12, first 2 shown]
	global_load_dwordx2 v[43:44], v[6:7], off offset:1560
	global_load_dwordx2 v[45:46], v[4:5], off offset:1560
	ds_read_u16 v15, v15
	s_waitcnt vmcnt(5)
	v_mul_f16_sdwa v4, v36, v37 dst_sel:DWORD dst_unused:UNUSED_PAD src0_sel:DWORD src1_sel:WORD_1
	v_mul_f16_sdwa v5, v35, v38 dst_sel:DWORD dst_unused:UNUSED_PAD src0_sel:DWORD src1_sel:WORD_1
	s_waitcnt lgkmcnt(6)
	v_mul_f16_sdwa v6, v52, v37 dst_sel:DWORD dst_unused:UNUSED_PAD src0_sel:DWORD src1_sel:WORD_1
	v_mul_f16_sdwa v7, v1, v38 dst_sel:DWORD dst_unused:UNUSED_PAD src0_sel:DWORD src1_sel:WORD_1
	s_waitcnt vmcnt(4)
	v_mul_f16_sdwa v59, v34, v40 dst_sel:DWORD dst_unused:UNUSED_PAD src0_sel:DWORD src1_sel:WORD_1
	v_fma_f16 v4, v52, v37, -v4
	v_fma_f16 v1, v1, v38, -v5
	v_fma_f16 v5, v36, v37, v6
	ds_read_u16 v37, v11 offset:660
	v_mul_f16_sdwa v61, v47, v40 dst_sel:DWORD dst_unused:UNUSED_PAD src0_sel:DWORD src1_sel:WORD_1
	v_fma_f16 v6, v35, v38, v7
	v_fma_f16 v35, v47, v40, -v59
	ds_read_u16 v47, v11 offset:528
	v_mul_f16_sdwa v58, v33, v39 dst_sel:DWORD dst_unused:UNUSED_PAD src0_sel:DWORD src1_sel:WORD_1
	s_waitcnt lgkmcnt(7)
	v_mul_f16_sdwa v60, v53, v39 dst_sel:DWORD dst_unused:UNUSED_PAD src0_sel:DWORD src1_sel:WORD_1
	v_fma_f16 v7, v53, v39, -v58
	v_fma_f16 v33, v33, v39, v60
	v_fma_f16 v34, v34, v40, v61
	v_add_f16_e32 v36, v4, v1
	v_sub_f16_e32 v40, v4, v1
	s_waitcnt lgkmcnt(1)
	v_add_f16_e32 v4, v37, v4
	v_add_f16_e32 v52, v7, v35
	v_sub_f16_e32 v38, v5, v6
	v_sub_f16_e32 v53, v33, v34
	v_fma_f16 v36, v36, -0.5, v37
	v_add_f16_e32 v37, v4, v1
	ds_read_u16 v1, v11 offset:396
	s_waitcnt lgkmcnt(1)
	v_fma_f16 v4, v52, -0.5, v47
	v_add_f16_e32 v39, v5, v6
	v_add_f16_e32 v5, v32, v5
	;; [unrolled: 1-line block ×3, first 2 shown]
	v_fma_f16 v11, v38, s0, v36
	v_fma_f16 v36, v38, s1, v36
	;; [unrolled: 1-line block ×4, first 2 shown]
	v_add_f16_e32 v4, v47, v7
	v_sub_f16_e32 v59, v7, v35
	v_fma_f16 v32, v39, -0.5, v32
	v_add_f16_e32 v39, v5, v6
	v_fma_f16 v5, v58, -0.5, v31
	v_add_f16_e32 v35, v4, v35
	v_add_f16_e32 v4, v31, v33
	ds_read_u16 v7, v10
	s_waitcnt vmcnt(3)
	v_mul_f16_sdwa v10, v54, v41 dst_sel:DWORD dst_unused:UNUSED_PAD src0_sel:DWORD src1_sel:WORD_1
	v_fma_f16 v52, v40, s1, v32
	v_fma_f16 v32, v40, s0, v32
	v_fma_f16 v40, v59, s1, v5
	v_fma_f16 v58, v59, s0, v5
	v_add_f16_e32 v31, v4, v34
	v_mul_f16_sdwa v4, v29, v41 dst_sel:DWORD dst_unused:UNUSED_PAD src0_sel:DWORD src1_sel:WORD_1
	v_mul_f16_sdwa v5, v30, v42 dst_sel:DWORD dst_unused:UNUSED_PAD src0_sel:DWORD src1_sel:WORD_1
	v_fma_f16 v10, v29, v41, v10
	v_mul_f16_sdwa v29, v48, v42 dst_sel:DWORD dst_unused:UNUSED_PAD src0_sel:DWORD src1_sel:WORD_1
	v_fma_f16 v4, v54, v41, -v4
	v_fma_f16 v5, v48, v42, -v5
	v_fma_f16 v29, v30, v42, v29
	v_add_f16_e32 v6, v4, v5
	v_add_f16_e32 v34, v10, v29
	s_waitcnt lgkmcnt(1)
	v_fma_f16 v6, v6, -0.5, v1
	v_fma_f16 v34, v34, -0.5, v28
	v_sub_f16_e32 v41, v4, v5
	v_add_f16_e32 v1, v1, v4
	v_fma_f16 v42, v41, s1, v34
	v_fma_f16 v34, v41, s0, v34
	v_add_f16_e32 v41, v1, v5
	v_add_f16_e32 v1, v28, v10
	ds_read_u16 v4, v16
	v_sub_f16_e32 v30, v10, v29
	v_add_f16_e32 v10, v1, v29
	s_waitcnt vmcnt(2)
	v_mul_f16_sdwa v1, v26, v8 dst_sel:DWORD dst_unused:UNUSED_PAD src0_sel:DWORD src1_sel:WORD_1
	v_mul_f16_sdwa v16, v55, v8 dst_sel:DWORD dst_unused:UNUSED_PAD src0_sel:DWORD src1_sel:WORD_1
	v_fma_f16 v1, v55, v8, -v1
	v_mul_f16_sdwa v5, v27, v9 dst_sel:DWORD dst_unused:UNUSED_PAD src0_sel:DWORD src1_sel:WORD_1
	v_fma_f16 v8, v26, v8, v16
	v_mul_f16_sdwa v16, v49, v9 dst_sel:DWORD dst_unused:UNUSED_PAD src0_sel:DWORD src1_sel:WORD_1
	v_fma_f16 v5, v49, v9, -v5
	v_fma_f16 v9, v27, v9, v16
	v_add_f16_e32 v27, v8, v9
	v_fma_f16 v33, v30, s0, v6
	v_fma_f16 v30, v30, s1, v6
	v_add_f16_e32 v6, v1, v5
	v_fma_f16 v27, v27, -0.5, v24
	v_sub_f16_e32 v28, v1, v5
	s_waitcnt lgkmcnt(0)
	v_add_f16_e32 v1, v4, v1
	v_fma_f16 v29, v28, s1, v27
	v_fma_f16 v27, v28, s0, v27
	v_add_f16_e32 v28, v1, v5
	v_add_f16_e32 v1, v24, v8
	v_fma_f16 v6, v6, -0.5, v4
	v_sub_f16_e32 v16, v8, v9
	v_add_f16_e32 v8, v1, v9
	s_waitcnt vmcnt(1)
	v_mul_f16_sdwa v1, v23, v43 dst_sel:DWORD dst_unused:UNUSED_PAD src0_sel:DWORD src1_sel:WORD_1
	v_mul_f16_sdwa v4, v25, v44 dst_sel:DWORD dst_unused:UNUSED_PAD src0_sel:DWORD src1_sel:WORD_1
	v_fma_f16 v26, v16, s0, v6
	v_fma_f16 v16, v16, s1, v6
	v_fma_f16 v1, v56, v43, -v1
	v_fma_f16 v4, v50, v44, -v4
	v_mul_f16_sdwa v6, v56, v43 dst_sel:DWORD dst_unused:UNUSED_PAD src0_sel:DWORD src1_sel:WORD_1
	v_add_f16_e32 v5, v1, v4
	v_fma_f16 v6, v23, v43, v6
	v_mul_f16_sdwa v9, v50, v44 dst_sel:DWORD dst_unused:UNUSED_PAD src0_sel:DWORD src1_sel:WORD_1
	v_sub_f16_e32 v43, v1, v4
	v_add_f16_e32 v1, v15, v1
	v_fma_f16 v5, v5, -0.5, v15
	v_fma_f16 v9, v25, v44, v9
	v_add_f16_e32 v15, v1, v4
	v_add_f16_e32 v1, v20, v6
	v_sub_f16_e32 v23, v6, v9
	v_add_f16_e32 v25, v6, v9
	v_add_f16_e32 v9, v1, v9
	s_waitcnt vmcnt(0)
	v_mul_f16_sdwa v1, v21, v45 dst_sel:DWORD dst_unused:UNUSED_PAD src0_sel:DWORD src1_sel:WORD_1
	v_mul_f16_sdwa v4, v22, v46 dst_sel:DWORD dst_unused:UNUSED_PAD src0_sel:DWORD src1_sel:WORD_1
	v_fma_f16 v25, v25, -0.5, v20
	v_fma_f16 v1, v57, v45, -v1
	v_fma_f16 v20, v51, v46, -v4
	v_add_f16_e32 v4, v1, v20
	v_fma_f16 v6, v4, -0.5, v7
	v_mul_f16_sdwa v4, v57, v45 dst_sel:DWORD dst_unused:UNUSED_PAD src0_sel:DWORD src1_sel:WORD_1
	v_fma_f16 v21, v21, v45, v4
	v_mul_f16_sdwa v4, v51, v46 dst_sel:DWORD dst_unused:UNUSED_PAD src0_sel:DWORD src1_sel:WORD_1
	v_fma_f16 v22, v22, v46, v4
	v_add_f16_e32 v4, v21, v22
	v_fma_f16 v24, v23, s0, v5
	v_fma_f16 v23, v23, s1, v5
	v_fma_f16 v46, v4, -0.5, v19
	v_mad_u64_u32 v[4:5], s[4:5], s2, v0, 0
	v_fma_f16 v44, v43, s1, v25
	v_fma_f16 v25, v43, s0, v25
	v_sub_f16_e32 v43, v21, v22
	v_sub_f16_e32 v47, v1, v20
	v_add_f16_e32 v7, v7, v1
	v_mov_b32_e32 v1, v5
	v_fma_f16 v45, v43, s0, v6
	v_fma_f16 v48, v47, s1, v46
	;; [unrolled: 1-line block ×4, first 2 shown]
	v_mad_u64_u32 v[5:6], s[0:1], s3, v0, v[1:2]
	v_add_f16_e32 v20, v7, v20
	v_mad_u64_u32 v[6:7], s[0:1], s2, v18, 0
	v_add_f16_e32 v1, v19, v21
	v_add_f16_e32 v19, v1, v22
	v_mov_b32_e32 v1, s13
	v_add_co_u32_e32 v21, vcc, s12, v2
	v_addc_co_u32_e32 v22, vcc, v1, v3, vcc
	v_mov_b32_e32 v3, v7
	v_lshlrev_b64 v[1:2], 2, v[4:5]
	v_mad_u64_u32 v[3:4], s[0:1], s3, v18, v[3:4]
	v_add_co_u32_e32 v1, vcc, v21, v1
	v_addc_co_u32_e32 v2, vcc, v22, v2, vcc
	v_pack_b32_f16 v4, v19, v20
	v_add_u32_e32 v5, 0x318, v0
	global_store_dword v[1:2], v4, off
	v_mov_b32_e32 v7, v3
	v_mad_u64_u32 v[3:4], s[0:1], s2, v5, 0
	v_lshlrev_b64 v[1:2], 2, v[6:7]
	v_pack_b32_f16 v7, v48, v45
	v_mad_u64_u32 v[4:5], s[0:1], s3, v5, v[4:5]
	v_add_co_u32_e32 v1, vcc, v21, v1
	v_addc_co_u32_e32 v2, vcc, v22, v2, vcc
	v_pack_b32_f16 v5, v46, v43
	global_store_dword v[1:2], v5, off
	v_add_u32_e32 v5, 0x42, v0
	v_lshlrev_b64 v[1:2], 2, v[3:4]
	v_mad_u64_u32 v[3:4], s[4:5], s2, v5, 0
	v_add_co_u32_e32 v1, vcc, v21, v1
	v_mad_u64_u32 v[4:5], s[4:5], s3, v5, v[4:5]
	v_mad_u64_u32 v[5:6], s[4:5], s2, v17, 0
	v_addc_co_u32_e32 v2, vcc, v22, v2, vcc
	global_store_dword v[1:2], v7, off
	v_lshlrev_b64 v[1:2], 2, v[3:4]
	v_mov_b32_e32 v3, v6
	v_mad_u64_u32 v[3:4], s[4:5], s3, v17, v[3:4]
	v_add_co_u32_e32 v1, vcc, v21, v1
	v_addc_co_u32_e32 v2, vcc, v22, v2, vcc
	v_pack_b32_f16 v4, v9, v15
	v_mov_b32_e32 v6, v3
	global_store_dword v[1:2], v4, off
	v_lshlrev_b64 v[1:2], 2, v[5:6]
	v_add_u32_e32 v5, 0x35a, v0
	v_mad_u64_u32 v[3:4], s[4:5], s2, v5, 0
	s_mov_b32 s1, 0xa57eb503
	v_add_co_u32_e32 v1, vcc, v21, v1
	v_mad_u64_u32 v[4:5], s[4:5], s3, v5, v[4:5]
	v_add_u32_e32 v5, 0x84, v0
	v_mul_hi_u32 v7, v5, s1
	v_addc_co_u32_e32 v2, vcc, v22, v2, vcc
	v_pack_b32_f16 v6, v25, v23
	s_movk_i32 s0, 0x318
	global_store_dword v[1:2], v6, off
	v_lshrrev_b32_e32 v2, 8, v7
	v_mad_u32_u24 v6, v2, s0, v5
	v_lshlrev_b64 v[0:1], 2, v[3:4]
	v_mad_u64_u32 v[2:3], s[4:5], s2, v6, 0
	v_add_u32_e32 v9, 0x18c, v6
	v_add_co_u32_e32 v0, vcc, v21, v0
	v_mad_u64_u32 v[3:4], s[4:5], s3, v6, v[3:4]
	v_mad_u64_u32 v[4:5], s[4:5], s2, v9, 0
	v_addc_co_u32_e32 v1, vcc, v22, v1, vcc
	v_pack_b32_f16 v7, v44, v24
	global_store_dword v[0:1], v7, off
	v_lshlrev_b64 v[0:1], 2, v[2:3]
	v_mov_b32_e32 v2, v5
	v_mad_u64_u32 v[2:3], s[4:5], s3, v9, v[2:3]
	v_add_co_u32_e32 v0, vcc, v21, v0
	v_addc_co_u32_e32 v1, vcc, v22, v1, vcc
	v_pack_b32_f16 v3, v8, v28
	v_mov_b32_e32 v5, v2
	global_store_dword v[0:1], v3, off
	v_lshlrev_b64 v[0:1], 2, v[4:5]
	v_add_u32_e32 v4, 0x318, v6
	v_mad_u64_u32 v[2:3], s[4:5], s2, v4, 0
	v_mul_hi_u32 v5, v14, s1
	v_add_co_u32_e32 v0, vcc, v21, v0
	v_mad_u64_u32 v[3:4], s[4:5], s3, v4, v[3:4]
	v_addc_co_u32_e32 v1, vcc, v22, v1, vcc
	v_pack_b32_f16 v4, v27, v16
	global_store_dword v[0:1], v4, off
	v_lshlrev_b64 v[0:1], 2, v[2:3]
	v_lshrrev_b32_e32 v2, 8, v5
	v_mad_u32_u24 v6, v2, s0, v14
	v_mad_u64_u32 v[2:3], s[4:5], s2, v6, 0
	v_add_u32_e32 v8, 0x18c, v6
	v_add_co_u32_e32 v0, vcc, v21, v0
	v_mad_u64_u32 v[3:4], s[4:5], s3, v6, v[3:4]
	v_mad_u64_u32 v[4:5], s[4:5], s2, v8, 0
	v_addc_co_u32_e32 v1, vcc, v22, v1, vcc
	v_pack_b32_f16 v7, v29, v26
	global_store_dword v[0:1], v7, off
	v_lshlrev_b64 v[0:1], 2, v[2:3]
	v_mov_b32_e32 v2, v5
	v_mad_u64_u32 v[2:3], s[4:5], s3, v8, v[2:3]
	v_add_co_u32_e32 v0, vcc, v21, v0
	v_addc_co_u32_e32 v1, vcc, v22, v1, vcc
	v_pack_b32_f16 v3, v10, v41
	v_mov_b32_e32 v5, v2
	global_store_dword v[0:1], v3, off
	v_lshlrev_b64 v[0:1], 2, v[4:5]
	v_add_u32_e32 v4, 0x318, v6
	v_mad_u64_u32 v[2:3], s[4:5], s2, v4, 0
	v_mul_hi_u32 v5, v13, s1
	v_add_co_u32_e32 v0, vcc, v21, v0
	v_mad_u64_u32 v[3:4], s[4:5], s3, v4, v[3:4]
	v_addc_co_u32_e32 v1, vcc, v22, v1, vcc
	v_pack_b32_f16 v4, v34, v30
	global_store_dword v[0:1], v4, off
	v_lshlrev_b64 v[0:1], 2, v[2:3]
	v_lshrrev_b32_e32 v2, 8, v5
	v_mad_u32_u24 v6, v2, s0, v13
	v_mad_u64_u32 v[2:3], s[4:5], s2, v6, 0
	v_add_u32_e32 v8, 0x18c, v6
	v_add_co_u32_e32 v0, vcc, v21, v0
	v_mad_u64_u32 v[3:4], s[4:5], s3, v6, v[3:4]
	v_mad_u64_u32 v[4:5], s[4:5], s2, v8, 0
	v_addc_co_u32_e32 v1, vcc, v22, v1, vcc
	v_pack_b32_f16 v7, v42, v33
	global_store_dword v[0:1], v7, off
	v_lshlrev_b64 v[0:1], 2, v[2:3]
	v_mov_b32_e32 v2, v5
	v_mad_u64_u32 v[2:3], s[4:5], s3, v8, v[2:3]
	v_add_co_u32_e32 v0, vcc, v21, v0
	v_addc_co_u32_e32 v1, vcc, v22, v1, vcc
	v_pack_b32_f16 v3, v31, v35
	v_mov_b32_e32 v5, v2
	global_store_dword v[0:1], v3, off
	v_lshlrev_b64 v[0:1], 2, v[4:5]
	v_add_u32_e32 v4, 0x318, v6
	v_mad_u64_u32 v[2:3], s[4:5], s2, v4, 0
	v_mul_hi_u32 v5, v12, s1
	v_add_co_u32_e32 v0, vcc, v21, v0
	v_mad_u64_u32 v[3:4], s[4:5], s3, v4, v[3:4]
	v_lshrrev_b32_e32 v4, 8, v5
	v_mad_u32_u24 v7, v4, s0, v12
	v_mad_u64_u32 v[4:5], s[0:1], s2, v7, 0
	v_addc_co_u32_e32 v1, vcc, v22, v1, vcc
	v_pack_b32_f16 v6, v58, v53
	global_store_dword v[0:1], v6, off
	v_lshlrev_b64 v[0:1], 2, v[2:3]
	v_mov_b32_e32 v2, v5
	v_mad_u64_u32 v[2:3], s[0:1], s3, v7, v[2:3]
	v_add_co_u32_e32 v0, vcc, v21, v0
	v_addc_co_u32_e32 v1, vcc, v22, v1, vcc
	v_pack_b32_f16 v3, v40, v38
	v_mov_b32_e32 v5, v2
	global_store_dword v[0:1], v3, off
	v_lshlrev_b64 v[0:1], 2, v[4:5]
	v_add_u32_e32 v4, 0x18c, v7
	v_mad_u64_u32 v[2:3], s[0:1], s2, v4, 0
	v_add_u32_e32 v7, 0x318, v7
	v_add_co_u32_e32 v0, vcc, v21, v0
	v_mad_u64_u32 v[3:4], s[0:1], s3, v4, v[3:4]
	v_mad_u64_u32 v[4:5], s[0:1], s2, v7, 0
	v_addc_co_u32_e32 v1, vcc, v22, v1, vcc
	v_pack_b32_f16 v6, v39, v37
	global_store_dword v[0:1], v6, off
	v_lshlrev_b64 v[0:1], 2, v[2:3]
	v_mov_b32_e32 v2, v5
	v_mad_u64_u32 v[2:3], s[0:1], s3, v7, v[2:3]
	v_add_co_u32_e32 v0, vcc, v21, v0
	v_addc_co_u32_e32 v1, vcc, v22, v1, vcc
	v_pack_b32_f16 v3, v32, v36
	v_mov_b32_e32 v5, v2
	global_store_dword v[0:1], v3, off
	v_lshlrev_b64 v[0:1], 2, v[4:5]
	v_pack_b32_f16 v2, v52, v11
	v_add_co_u32_e32 v0, vcc, v21, v0
	v_addc_co_u32_e32 v1, vcc, v22, v1, vcc
	global_store_dword v[0:1], v2, off
.LBB0_22:
	s_endpgm
	.section	.rodata,"a",@progbits
	.p2align	6, 0x0
	.amdhsa_kernel fft_rtc_back_len1188_factors_6_11_2_3_3_wgs_198_tpt_66_halfLds_half_ip_CI_sbrr_dirReg
		.amdhsa_group_segment_fixed_size 0
		.amdhsa_private_segment_fixed_size 0
		.amdhsa_kernarg_size 88
		.amdhsa_user_sgpr_count 6
		.amdhsa_user_sgpr_private_segment_buffer 1
		.amdhsa_user_sgpr_dispatch_ptr 0
		.amdhsa_user_sgpr_queue_ptr 0
		.amdhsa_user_sgpr_kernarg_segment_ptr 1
		.amdhsa_user_sgpr_dispatch_id 0
		.amdhsa_user_sgpr_flat_scratch_init 0
		.amdhsa_user_sgpr_private_segment_size 0
		.amdhsa_uses_dynamic_stack 0
		.amdhsa_system_sgpr_private_segment_wavefront_offset 0
		.amdhsa_system_sgpr_workgroup_id_x 1
		.amdhsa_system_sgpr_workgroup_id_y 0
		.amdhsa_system_sgpr_workgroup_id_z 0
		.amdhsa_system_sgpr_workgroup_info 0
		.amdhsa_system_vgpr_workitem_id 0
		.amdhsa_next_free_vgpr 80
		.amdhsa_next_free_sgpr 25
		.amdhsa_reserve_vcc 1
		.amdhsa_reserve_flat_scratch 0
		.amdhsa_float_round_mode_32 0
		.amdhsa_float_round_mode_16_64 0
		.amdhsa_float_denorm_mode_32 3
		.amdhsa_float_denorm_mode_16_64 3
		.amdhsa_dx10_clamp 1
		.amdhsa_ieee_mode 1
		.amdhsa_fp16_overflow 0
		.amdhsa_exception_fp_ieee_invalid_op 0
		.amdhsa_exception_fp_denorm_src 0
		.amdhsa_exception_fp_ieee_div_zero 0
		.amdhsa_exception_fp_ieee_overflow 0
		.amdhsa_exception_fp_ieee_underflow 0
		.amdhsa_exception_fp_ieee_inexact 0
		.amdhsa_exception_int_div_zero 0
	.end_amdhsa_kernel
	.text
.Lfunc_end0:
	.size	fft_rtc_back_len1188_factors_6_11_2_3_3_wgs_198_tpt_66_halfLds_half_ip_CI_sbrr_dirReg, .Lfunc_end0-fft_rtc_back_len1188_factors_6_11_2_3_3_wgs_198_tpt_66_halfLds_half_ip_CI_sbrr_dirReg
                                        ; -- End function
	.section	.AMDGPU.csdata,"",@progbits
; Kernel info:
; codeLenInByte = 14692
; NumSgprs: 29
; NumVgprs: 80
; ScratchSize: 0
; MemoryBound: 0
; FloatMode: 240
; IeeeMode: 1
; LDSByteSize: 0 bytes/workgroup (compile time only)
; SGPRBlocks: 3
; VGPRBlocks: 19
; NumSGPRsForWavesPerEU: 29
; NumVGPRsForWavesPerEU: 80
; Occupancy: 3
; WaveLimiterHint : 1
; COMPUTE_PGM_RSRC2:SCRATCH_EN: 0
; COMPUTE_PGM_RSRC2:USER_SGPR: 6
; COMPUTE_PGM_RSRC2:TRAP_HANDLER: 0
; COMPUTE_PGM_RSRC2:TGID_X_EN: 1
; COMPUTE_PGM_RSRC2:TGID_Y_EN: 0
; COMPUTE_PGM_RSRC2:TGID_Z_EN: 0
; COMPUTE_PGM_RSRC2:TIDIG_COMP_CNT: 0
	.type	__hip_cuid_51fd630792eb01e1,@object ; @__hip_cuid_51fd630792eb01e1
	.section	.bss,"aw",@nobits
	.globl	__hip_cuid_51fd630792eb01e1
__hip_cuid_51fd630792eb01e1:
	.byte	0                               ; 0x0
	.size	__hip_cuid_51fd630792eb01e1, 1

	.ident	"AMD clang version 19.0.0git (https://github.com/RadeonOpenCompute/llvm-project roc-6.4.0 25133 c7fe45cf4b819c5991fe208aaa96edf142730f1d)"
	.section	".note.GNU-stack","",@progbits
	.addrsig
	.addrsig_sym __hip_cuid_51fd630792eb01e1
	.amdgpu_metadata
---
amdhsa.kernels:
  - .args:
      - .actual_access:  read_only
        .address_space:  global
        .offset:         0
        .size:           8
        .value_kind:     global_buffer
      - .offset:         8
        .size:           8
        .value_kind:     by_value
      - .actual_access:  read_only
        .address_space:  global
        .offset:         16
        .size:           8
        .value_kind:     global_buffer
      - .actual_access:  read_only
        .address_space:  global
        .offset:         24
        .size:           8
        .value_kind:     global_buffer
      - .offset:         32
        .size:           8
        .value_kind:     by_value
      - .actual_access:  read_only
        .address_space:  global
        .offset:         40
        .size:           8
        .value_kind:     global_buffer
      - .actual_access:  read_only
        .address_space:  global
        .offset:         48
        .size:           8
        .value_kind:     global_buffer
      - .offset:         56
        .size:           4
        .value_kind:     by_value
      - .actual_access:  read_only
        .address_space:  global
        .offset:         64
        .size:           8
        .value_kind:     global_buffer
      - .actual_access:  read_only
        .address_space:  global
        .offset:         72
        .size:           8
        .value_kind:     global_buffer
      - .address_space:  global
        .offset:         80
        .size:           8
        .value_kind:     global_buffer
    .group_segment_fixed_size: 0
    .kernarg_segment_align: 8
    .kernarg_segment_size: 88
    .language:       OpenCL C
    .language_version:
      - 2
      - 0
    .max_flat_workgroup_size: 198
    .name:           fft_rtc_back_len1188_factors_6_11_2_3_3_wgs_198_tpt_66_halfLds_half_ip_CI_sbrr_dirReg
    .private_segment_fixed_size: 0
    .sgpr_count:     29
    .sgpr_spill_count: 0
    .symbol:         fft_rtc_back_len1188_factors_6_11_2_3_3_wgs_198_tpt_66_halfLds_half_ip_CI_sbrr_dirReg.kd
    .uniform_work_group_size: 1
    .uses_dynamic_stack: false
    .vgpr_count:     80
    .vgpr_spill_count: 0
    .wavefront_size: 64
amdhsa.target:   amdgcn-amd-amdhsa--gfx906
amdhsa.version:
  - 1
  - 2
...

	.end_amdgpu_metadata
